;; amdgpu-corpus repo=ROCm/aiter kind=harvested arch=n/a opt=n/a

/root/src/amdgpu-assembly/repos/ROCm__aiter/hsa/gfx942/fmoe_f16.co:	file format elf64-amdgpu

Disassembly of section .text:

0000000000001d00 <fmoe_kernel_func>:
	s_and_b32 s1, s1, 0xffff                                   // 000000001D00: 8601FF01 0000FFFF
	s_load_dwordx2 s[8:9], s[0:1], 0x0                         // 000000001D08: C0060200 00000000
	s_load_dwordx2 s[16:17], s[0:1], 0x10                      // 000000001D10: C0060400 00000010
	s_load_dwordx2 s[20:21], s[0:1], 0x20                      // 000000001D18: C0060500 00000020
	s_load_dwordx2 s[32:33], s[0:1], 0x30                      // 000000001D20: C0060800 00000030
	s_load_dwordx2 s[12:13], s[0:1], 0x40                      // 000000001D28: C0060300 00000040
	s_load_dwordx2 s[28:29], s[0:1], 0x90                      // 000000001D30: C0060700 00000090
	s_load_dwordx2 s[24:25], s[0:1], 0xa0                      // 000000001D38: C0060600 000000A0
	s_load_dwordx2 s[30:31], s[0:1], 0xb0                      // 000000001D40: C0060780 000000B0
	s_load_dword s64, s[0:1], 0xc0                             // 000000001D48: C0021000 000000C0
	s_load_dword s65, s[0:1], 0xd0                             // 000000001D50: C0021040 000000D0
	s_load_dword s66, s[0:1], 0xe0                             // 000000001D58: C0021080 000000E0
	s_load_dword s67, s[0:1], 0xf0                             // 000000001D60: C00210C0 000000F0
	s_load_dword s68, s[0:1], 0x100                            // 000000001D68: C0021100 00000100
	s_load_dword s69, s[0:1], 0x110                            // 000000001D70: C0021140 00000110
	s_load_dword s70, s[0:1], 0x120                            // 000000001D78: C0021180 00000120
	s_load_dword s71, s[0:1], 0x130                            // 000000001D80: C00211C0 00000130
	s_load_dword s72, s[0:1], 0x140                            // 000000001D88: C0021200 00000140
	s_load_dword s73, s[0:1], 0x150                            // 000000001D90: C0021240 00000150
	v_lshrrev_b32_e32 v1, 10, v0                               // 000000001D98: 2002008A
	v_lshrrev_b32_e32 v2, 10, v1                               // 000000001D9C: 2004028A
	v_and_b32_e32 v2, 0x3ff, v2                                // 000000001DA0: 260404FF 000003FF
	v_and_b32_e32 v1, 0x3ff, v1                                // 000000001DA8: 260202FF 000003FF
	v_and_b32_e32 v0, 0x3ff, v0                                // 000000001DB0: 260000FF 000003FF
	v_lshrrev_b32_e32 v3, 6, v0                                // 000000001DB8: 20060086
	v_and_b32_e32 v0, 63, v0                                   // 000000001DBC: 260000BF
	s_mov_b32 s2, s2                                           // 000000001DC0: BE820002
	s_mov_b32 s3, s3                                           // 000000001DC4: BE830003
	s_mov_b32 s4, s4                                           // 000000001DC8: BE840004
	v_readfirstlane_b32 s7, v3                                 // 000000001DCC: 7E0E0503
	s_waitcnt lgkmcnt(0)                                       // 000000001DD0: BF8CC07F
	s_and_b32 s33, s33, 0xffff                                 // 000000001DD4: 8621FF21 0000FFFF
	s_load_dword s32, s[32:33], 0x0                            // 000000001DDC: C0020810 00000000
	s_and_b32 s29, s29, 0xffff                                 // 000000001DE4: 861DFF1D 0000FFFF
	s_and_b32 s31, s31, 0xffff                                 // 000000001DEC: 861FFF1F 0000FFFF
	s_and_b32 s9, s9, 0xffff                                   // 000000001DF4: 8609FF09 0000FFFF
	s_mul_i32 s60, s66, s68                                    // 000000001DFC: 923C4442
	s_mul_i32 s62, s66, s71                                    // 000000001E00: 923E4742
	s_mov_b32 s18, s60                                         // 000000001E04: BE92003C
	s_mov_b32 s22, 0x80000000                                  // 000000001E08: BE9600FF 80000000
	s_mov_b32 s14, 0x80000000                                  // 000000001E10: BE8E00FF 80000000
	s_mov_b32 s26, 0x80000000                                  // 000000001E18: BE9A00FF 80000000
	s_mov_b32 s19, 0x20000                                     // 000000001E20: BE9300FF 00020000
	s_mov_b32 s23, 0x20000                                     // 000000001E28: BE9700FF 00020000
	s_mov_b32 s15, 0x20000                                     // 000000001E30: BE8F00FF 00020000
	s_mov_b32 s27, 0x20000                                     // 000000001E38: BE9B00FF 00020000
	s_and_b32 s17, s17, 0xffff                                 // 000000001E40: 8611FF11 0000FFFF
	s_and_b32 s21, s21, 0xffff                                 // 000000001E48: 8615FF15 0000FFFF
	s_and_b32 s13, s13, 0xffff                                 // 000000001E50: 860DFF0D 0000FFFF
	s_and_b32 s25, s25, 0xffff                                 // 000000001E58: 8619FF19 0000FFFF
	s_or_b32 s17, s17, 0x40000                                 // 000000001E60: 8711FF11 00040000
	s_or_b32 s21, s21, 0x40000                                 // 000000001E68: 8715FF15 00040000
	s_or_b32 s13, s13, 0x40000                                 // 000000001E70: 870DFF0D 00040000
	s_or_b32 s25, s25, 0x40000                                 // 000000001E78: 8719FF19 00040000
	v_accvgpr_write_b32 a255, 0                                // 000000001E80: D3D940FF 18000080
	v_mov_b32_e32 v255, 0                                      // 000000001E88: 7FFE0280
	s_waitcnt lgkmcnt(0)                                       // 000000001E8C: BF8CC07F
	s_mul_i32 s60, s3, 32                                      // 000000001E90: 923CA003
	s_cmp_lt_i32 s60, s32                                      // 000000001E94: BF04203C
	s_cbranch_scc0 label_1C11                                  // 000000001E98: BF841788
	s_mov_b32 s80, 0                                           // 000000001E9C: BED00080
	s_mov_b32 s81, s64                                         // 000000001EA0: BED10040
	s_mul_i32 s60, s3, 4                                       // 000000001EA4: 923C8403
	s_add_u32 s30, s60, s30                                    // 000000001EA8: 801E1E3C
	s_addc_u32 s31, 0, s31                                     // 000000001EAC: 821F1F80
	s_load_dword s5, s[30:31], 0x0                             // 000000001EB0: C002014F 00000000
	s_mul_i32 s60, s3, 32                                      // 000000001EB8: 923CA003
	s_add_u32 s60, s7, s60                                     // 000000001EBC: 803C3C07
	s_mul_i32 s60, 4, s60                                      // 000000001EC0: 923C3C84
	s_add_u32 s28, s60, s28                                    // 000000001EC4: 801C1C3C
	s_addc_u32 s29, 0, s29                                     // 000000001EC8: 821D1D80
	s_load_dword s82, s[28:29], 0x0                            // 000000001ECC: C002148E 00000000
	s_load_dword s83, s[28:29], 0x10                           // 000000001ED4: C00214CE 00000010
	s_load_dword s84, s[28:29], 0x20                           // 000000001EDC: C002150E 00000020
	s_load_dword s85, s[28:29], 0x30                           // 000000001EE4: C002154E 00000030
	s_load_dword s86, s[28:29], 0x40                           // 000000001EEC: C002158E 00000040
	s_load_dword s87, s[28:29], 0x50                           // 000000001EF4: C00215CE 00000050
	s_load_dword s88, s[28:29], 0x60                           // 000000001EFC: C002160E 00000060
	s_load_dword s52, s[28:29], 0x70                           // 000000001F04: C0020D0E 00000070
	s_mul_i32 s60, s3, 32                                      // 000000001F0C: 923CA003
	s_mul_i32 s60, 4, s60                                      // 000000001F10: 923C3C84
	s_add_u32 s24, s60, s24                                    // 000000001F14: 8018183C
	s_addc_u32 s25, 0, s25                                     // 000000001F18: 82191980
	v_and_b32_e32 v54, 15, v0                                  // 000000001F1C: 266C008F
	v_lshlrev_b32_e32 v6, 2, v54                               // 000000001F20: 240C6C82
	v_add_u32_e32 v7, 64, v6                                   // 000000001F24: 680E0CC0
	buffer_load_dword v8, v6, s[24:27], 0 offen                // 000000001F28: E0501000 80060806
	buffer_load_dword v9, v7, s[24:27], 0 offen                // 000000001F30: E0501000 80060907
	s_waitcnt lgkmcnt(0)                                       // 000000001F38: BF8CC07F
	v_lshlrev_b32_e32 v54, 2, v0                               // 000000001F3C: 246C0082
	s_and_b32 s82, s82, 0xffffff                               // 000000001F40: 8652FF52 00FFFFFF
	s_mul_i32 s60, s82, s68                                    // 000000001F48: 923C4452
	v_add_u32_e64 v10, v54, s60                                // 000000001F4C: D134000A 00007936
	s_and_b32 s83, s83, 0xffffff                               // 000000001F54: 8653FF53 00FFFFFF
	s_mul_i32 s60, s83, s68                                    // 000000001F5C: 923C4453
	v_add_u32_e64 v11, v54, s60                                // 000000001F60: D134000B 00007936
	s_and_b32 s84, s84, 0xffffff                               // 000000001F68: 8654FF54 00FFFFFF
	s_mul_i32 s60, s84, s68                                    // 000000001F70: 923C4454
	v_add_u32_e64 v12, v54, s60                                // 000000001F74: D134000C 00007936
	s_and_b32 s85, s85, 0xffffff                               // 000000001F7C: 8655FF55 00FFFFFF
	s_mul_i32 s60, s85, s68                                    // 000000001F84: 923C4455
	v_add_u32_e64 v13, v54, s60                                // 000000001F88: D134000D 00007936
	s_and_b32 s86, s86, 0xffffff                               // 000000001F90: 8656FF56 00FFFFFF
	s_mul_i32 s60, s86, s68                                    // 000000001F98: 923C4456
	v_add_u32_e64 v14, v54, s60                                // 000000001F9C: D134000E 00007936
	s_and_b32 s87, s87, 0xffffff                               // 000000001FA4: 8657FF57 00FFFFFF
	s_mul_i32 s60, s87, s68                                    // 000000001FAC: 923C4457
	v_add_u32_e64 v15, v54, s60                                // 000000001FB0: D134000F 00007936
	s_and_b32 s88, s88, 0xffffff                               // 000000001FB8: 8658FF58 00FFFFFF
	s_mul_i32 s60, s88, s68                                    // 000000001FC0: 923C4458
	v_add_u32_e64 v16, v54, s60                                // 000000001FC4: D1340010 00007936
	s_and_b32 s52, s52, 0xffffff                               // 000000001FCC: 8634FF34 00FFFFFF
	s_mul_i32 s60, s52, s68                                    // 000000001FD4: 923C4434
	v_add_u32_e64 v17, v54, s60                                // 000000001FD8: D1340011 00007936
	v_lshlrev_b32_e32 v54, 2, v0                               // 000000001FE0: 246C0082
	s_mul_i32 s60, s82, s71                                    // 000000001FE4: 923C4752
	v_add_u32_e64 v34, v54, s60                                // 000000001FE8: D1340022 00007936
	v_mov_b32_e32 v35, 0                                       // 000000001FF0: 7E460280
	s_mul_i32 s60, s83, s71                                    // 000000001FF4: 923C4753
	v_add_u32_e64 v36, v54, s60                                // 000000001FF8: D1340024 00007936
	v_mov_b32_e32 v37, 0                                       // 000000002000: 7E4A0280
	s_mul_i32 s60, s84, s71                                    // 000000002004: 923C4754
	v_add_u32_e64 v38, v54, s60                                // 000000002008: D1340026 00007936
	v_mov_b32_e32 v39, 0                                       // 000000002010: 7E4E0280
	s_mul_i32 s60, s85, s71                                    // 000000002014: 923C4755
	v_add_u32_e64 v40, v54, s60                                // 000000002018: D1340028 00007936
	v_mov_b32_e32 v41, 0                                       // 000000002020: 7E520280
	s_mul_i32 s60, s86, s71                                    // 000000002024: 923C4756
	v_add_u32_e64 v42, v54, s60                                // 000000002028: D134002A 00007936
	v_mov_b32_e32 v43, 0                                       // 000000002030: 7E560280
	s_mul_i32 s60, s87, s71                                    // 000000002034: 923C4757
	v_add_u32_e64 v44, v54, s60                                // 000000002038: D134002C 00007936
	v_mov_b32_e32 v45, 0                                       // 000000002040: 7E5A0280
	s_mul_i32 s60, s88, s71                                    // 000000002044: 923C4758
	v_add_u32_e64 v46, v54, s60                                // 000000002048: D134002E 00007936
	v_mov_b32_e32 v47, 0                                       // 000000002050: 7E5E0280
	s_mul_i32 s60, s52, s71                                    // 000000002054: 923C4734
	v_add_u32_e64 v48, v54, s60                                // 000000002058: D1340030 00007936
	v_mov_b32_e32 v49, 0                                       // 000000002060: 7E620280
	s_mul_i32 s60, s7, 0x820                                   // 000000002064: 923CFF07 00000820
	s_add_u32 s36, 0, s60                                      // 00000000206C: 80243C80
	s_add_u32 s37, 0x2080, s36                                 // 000000002070: 802524FF 00002080
	v_lshrrev_b32_e32 v54, 4, v0                               // 000000002078: 206C0084
	v_lshlrev_b32_e32 v55, 2, v54                              // 00000000207C: 246E6C82
	v_and_b32_e32 v54, 15, v0                                  // 000000002080: 266C008F
	v_lshrrev_b32_e32 v56, 2, v54                              // 000000002084: 20706C82
	v_lshlrev_b32_e32 v56, 6, v56                              // 000000002088: 24707086
	v_add_u32_e32 v55, v56, v55                                // 00000000208C: 686E6F38
	v_and_b32_e32 v54, 3, v0                                   // 000000002090: 266C0083
	v_mul_i32_i24_e32 v56, 0x208, v54                          // 000000002094: 0C706CFF 00000208
	v_add_u32_e32 v55, v56, v55                                // 00000000209C: 686E6F38
	v_lshlrev_b32_e32 v2, 2, v55                               // 0000000020A0: 24046E82
	s_mul_i32 s60, s2, 0x200                                   // 0000000020A4: 923CFF02 00000200
	s_mul_i32 s60, s60, s69                                    // 0000000020AC: 923C453C
	s_mul_i32 s61, s5, s72                                     // 0000000020B0: 923D4805
	s_add_u32 s60, s61, s60                                    // 0000000020B4: 803C3C3D
	s_add_u32 s20, s60, s20                                    // 0000000020B8: 8014143C
	s_addc_u32 s21, 0, s21                                     // 0000000020BC: 82151580
	s_mul_i32 s60, s7, 16                                      // 0000000020C0: 923C9007
	s_mul_i32 s60, s60, s69                                    // 0000000020C4: 923C453C
	v_lshlrev_b32_e32 v26, 4, v0                               // 0000000020C8: 24340084
	v_add_u32_e32 v26, s60, v26                                // 0000000020CC: 6834343C
	s_mul_i32 s60, 64, s69                                     // 0000000020D0: 923C45C0
	v_add_u32_e32 v27, s60, v26                                // 0000000020D4: 6836343C
	v_add_u32_e32 v28, s60, v27                                // 0000000020D8: 6838363C
	v_add_u32_e32 v29, s60, v28                                // 0000000020DC: 683A383C
	v_add_u32_e32 v30, s60, v29                                // 0000000020E0: 683C3A3C
	v_add_u32_e32 v31, s60, v30                                // 0000000020E4: 683E3C3C
	v_add_u32_e32 v32, s60, v31                                // 0000000020E8: 68403E3C
	v_add_u32_e32 v33, s60, v32                                // 0000000020EC: 6842403C
	s_mul_i32 s60, s2, 0x4000                                  // 0000000020F0: 923CFF02 00004000
	s_mul_i32 s61, s5, s73                                     // 0000000020F8: 923D4905
	s_add_u32 s60, s61, s60                                    // 0000000020FC: 803C3C3D
	s_add_u32 s12, s60, s12                                    // 000000002100: 800C0C3C
	s_addc_u32 s13, 0, s13                                     // 000000002104: 820D0D80
	s_mul_i32 s60, s7, 16                                      // 000000002108: 923C9007
	s_mul_i32 s60, s60, s70                                    // 00000000210C: 923C463C
	v_lshlrev_b32_e32 v18, 4, v0                               // 000000002110: 24240084
	v_add_u32_e32 v18, s60, v18                                // 000000002114: 6824243C
	s_mul_i32 s60, 64, s70                                     // 000000002118: 923C46C0
	v_add_u32_e32 v19, s60, v18                                // 00000000211C: 6826243C
	v_add_u32_e32 v20, 0x1000, v18                             // 000000002120: 682824FF 00001000
	v_add_u32_e32 v21, 0x1000, v19                             // 000000002128: 682A26FF 00001000
	v_add_u32_e32 v22, 0x1000, v20                             // 000000002130: 682C28FF 00001000
	v_add_u32_e32 v23, 0x1000, v21                             // 000000002138: 682E2AFF 00001000
	v_add_u32_e32 v24, 0x1000, v22                             // 000000002140: 68302CFF 00001000
	v_add_u32_e32 v25, 0x1000, v23                             // 000000002148: 68322EFF 00001000
	s_mul_i32 s56, s70, 0x80                                   // 000000002150: 9238FF46 00000080
	s_mov_b32 s57, 0x100                                       // 000000002158: BEB900FF 00000100
	s_mov_b32 s58, 0x1000                                      // 000000002160: BEBA00FF 00001000
	s_mov_b32 s59, 0                                           // 000000002168: BEBB0080
	s_mov_b32 s6, 0x3fb8aa3b                                   // 00000000216C: BE8600FF 3FB8AA3B
	s_mov_b32 s77, 0xbd92220c                                  // 000000002174: BECD00FF BD92220C
	s_mov_b32 m0, s36                                          // 00000000217C: BEFC0024
	v_mov_b32_e32 v5, 0xbfcc4231                               // 000000002180: 7E0A02FF BFCC4231
	v_mov_b32_e32 v51, 0xffff0000                              // 000000002188: 7E6602FF FFFF0000
	v_mov_b32_e32 v52, 0x7fff0000                              // 000000002190: 7E6802FF 7FFF0000
	v_mov_b32_e32 v53, 0x7fff                                  // 000000002198: 7E6A02FF 00007FFF
	buffer_load_dword v10, s[16:19], 0 offen lds               // 0000000021A0: E0511000 8004000A
	s_add_u32 m0, 0x100, s36                                   // 0000000021A8: 807C24FF 00000100
	buffer_load_dword v11, s[16:19], 0 offen lds               // 0000000021B0: E0511000 8004000B
	s_add_u32 m0, 0x200, s36                                   // 0000000021B8: 807C24FF 00000200
	buffer_load_dword v12, s[16:19], 0 offen lds               // 0000000021C0: E0511000 8004000C
	s_add_u32 m0, 0x300, s36                                   // 0000000021C8: 807C24FF 00000300
	buffer_load_dword v13, s[16:19], 0 offen lds               // 0000000021D0: E0511000 8004000D
	s_add_u32 m0, 0x400, s36                                   // 0000000021D8: 807C24FF 00000400
	buffer_load_dword v14, s[16:19], 0 offen lds               // 0000000021E0: E0511000 8004000E
	s_add_u32 m0, 0x500, s36                                   // 0000000021E8: 807C24FF 00000500
	buffer_load_dword v15, s[16:19], 0 offen lds               // 0000000021F0: E0511000 8004000F
	s_add_u32 m0, 0x600, s36                                   // 0000000021F8: 807C24FF 00000600
	buffer_load_dword v16, s[16:19], 0 offen lds               // 000000002200: E0511000 80040010
	s_add_u32 m0, 0x700, s36                                   // 000000002208: 807C24FF 00000700
	buffer_load_dword v17, s[16:19], 0 offen lds               // 000000002210: E0511000 80040011
	s_add_u32 m0, 0, s37                                       // 000000002218: 807C2580
	s_add_u32 s16, s57, s16                                    // 00000000221C: 80101039
	s_addc_u32 s17, 0, s17                                     // 000000002220: 82111180
	buffer_load_dword v10, s[16:19], 0 offen lds               // 000000002224: E0511000 8004000A
	s_add_u32 m0, 0x100, s37                                   // 00000000222C: 807C25FF 00000100
	buffer_load_dword v11, s[16:19], 0 offen lds               // 000000002234: E0511000 8004000B
	s_add_u32 m0, 0x200, s37                                   // 00000000223C: 807C25FF 00000200
	buffer_load_dword v12, s[16:19], 0 offen lds               // 000000002244: E0511000 8004000C
	s_add_u32 m0, 0x300, s37                                   // 00000000224C: 807C25FF 00000300
	buffer_load_dword v13, s[16:19], 0 offen lds               // 000000002254: E0511000 8004000D
	s_add_u32 m0, 0x400, s37                                   // 00000000225C: 807C25FF 00000400
	buffer_load_dword v14, s[16:19], 0 offen lds               // 000000002264: E0511000 8004000E
	s_add_u32 m0, 0x500, s37                                   // 00000000226C: 807C25FF 00000500
	buffer_load_dword v15, s[16:19], 0 offen lds               // 000000002274: E0511000 8004000F
	s_add_u32 m0, 0x600, s37                                   // 00000000227C: 807C25FF 00000600
	buffer_load_dword v16, s[16:19], 0 offen lds               // 000000002284: E0511000 80040010
	s_add_u32 m0, 0x700, s37                                   // 00000000228C: 807C25FF 00000700
	buffer_load_dword v17, s[16:19], 0 offen lds               // 000000002294: E0511000 80040011
	s_add_u32 m0, 0, s36                                       // 00000000229C: 807C2480
	s_add_u32 s16, s57, s16                                    // 0000000022A0: 80101039
	s_addc_u32 s17, 0, s17                                     // 0000000022A4: 82111180
	buffer_load_dwordx4 a[0:3], v26, s[20:23], 0 offen         // 0000000022A8: E05C1000 8085001A
	buffer_load_dwordx4 a[4:7], v26, s[20:23], 0 offen offset:1024// 0000000022B0: E05C1400 8085041A
	buffer_load_dwordx4 a[8:11], v26, s[20:23], 0 offen offset:2048// 0000000022B8: E05C1800 8085081A
	buffer_load_dwordx4 a[12:15], v26, s[20:23], 0 offen offset:3072// 0000000022C0: E05C1C00 80850C1A
	buffer_load_dwordx4 a[16:19], v27, s[20:23], 0 offen       // 0000000022C8: E05C1000 8085101B
	buffer_load_dwordx4 a[20:23], v27, s[20:23], 0 offen offset:1024// 0000000022D0: E05C1400 8085141B
	buffer_load_dwordx4 a[24:27], v27, s[20:23], 0 offen offset:2048// 0000000022D8: E05C1800 8085181B
	buffer_load_dwordx4 a[28:31], v27, s[20:23], 0 offen offset:3072// 0000000022E0: E05C1C00 80851C1B
	buffer_load_dwordx4 a[32:35], v28, s[20:23], 0 offen       // 0000000022E8: E05C1000 8085201C
	buffer_load_dwordx4 a[36:39], v28, s[20:23], 0 offen offset:1024// 0000000022F0: E05C1400 8085241C
	buffer_load_dwordx4 a[40:43], v28, s[20:23], 0 offen offset:2048// 0000000022F8: E05C1800 8085281C
	buffer_load_dwordx4 a[44:47], v28, s[20:23], 0 offen offset:3072// 000000002300: E05C1C00 80852C1C
	buffer_load_dwordx4 a[48:51], v29, s[20:23], 0 offen       // 000000002308: E05C1000 8085301D
	buffer_load_dwordx4 a[52:55], v29, s[20:23], 0 offen offset:1024// 000000002310: E05C1400 8085341D
	buffer_load_dwordx4 a[56:59], v29, s[20:23], 0 offen offset:2048// 000000002318: E05C1800 8085381D
	buffer_load_dwordx4 a[60:63], v29, s[20:23], 0 offen offset:3072// 000000002320: E05C1C00 80853C1D
	buffer_load_dwordx4 a[64:67], v30, s[20:23], 0 offen       // 000000002328: E05C1000 8085401E
	buffer_load_dwordx4 a[68:71], v30, s[20:23], 0 offen offset:1024// 000000002330: E05C1400 8085441E
	buffer_load_dwordx4 a[72:75], v30, s[20:23], 0 offen offset:2048// 000000002338: E05C1800 8085481E
	buffer_load_dwordx4 a[76:79], v30, s[20:23], 0 offen offset:3072// 000000002340: E05C1C00 80854C1E
	buffer_load_dwordx4 a[80:83], v31, s[20:23], 0 offen       // 000000002348: E05C1000 8085501F
	buffer_load_dwordx4 a[84:87], v31, s[20:23], 0 offen offset:1024// 000000002350: E05C1400 8085541F
	buffer_load_dwordx4 a[88:91], v31, s[20:23], 0 offen offset:2048// 000000002358: E05C1800 8085581F
	buffer_load_dwordx4 a[92:95], v31, s[20:23], 0 offen offset:3072// 000000002360: E05C1C00 80855C1F
	buffer_load_dwordx4 a[96:99], v32, s[20:23], 0 offen       // 000000002368: E05C1000 80856020
	buffer_load_dwordx4 a[100:103], v32, s[20:23], 0 offen offset:1024// 000000002370: E05C1400 80856420
	buffer_load_dwordx4 a[104:107], v32, s[20:23], 0 offen offset:2048// 000000002378: E05C1800 80856820
	buffer_load_dwordx4 a[108:111], v32, s[20:23], 0 offen offset:3072// 000000002380: E05C1C00 80856C20
	buffer_load_dwordx4 a[112:115], v33, s[20:23], 0 offen     // 000000002388: E05C1000 80857021
	buffer_load_dwordx4 a[116:119], v33, s[20:23], 0 offen offset:1024// 000000002390: E05C1400 80857421
	buffer_load_dwordx4 a[120:123], v33, s[20:23], 0 offen offset:2048// 000000002398: E05C1800 80857821
	buffer_load_dwordx4 a[124:127], v33, s[20:23], 0 offen offset:3072// 0000000023A0: E05C1C00 80857C21
	s_add_u32 s20, s58, s20                                    // 0000000023A8: 8014143A
	s_addc_u32 s21, 0, s21                                     // 0000000023AC: 82151580
	v_mov_b32_e32 v128, 0                                      // 0000000023B0: 7F000280
	v_mov_b32_e32 v129, 0                                      // 0000000023B4: 7F020280
	v_mov_b32_e32 v130, 0                                      // 0000000023B8: 7F040280
	v_mov_b32_e32 v131, 0                                      // 0000000023BC: 7F060280
	v_mov_b32_e32 v132, 0                                      // 0000000023C0: 7F080280
	v_mov_b32_e32 v133, 0                                      // 0000000023C4: 7F0A0280
	v_mov_b32_e32 v134, 0                                      // 0000000023C8: 7F0C0280
	v_mov_b32_e32 v135, 0                                      // 0000000023CC: 7F0E0280
	v_mov_b32_e32 v136, 0                                      // 0000000023D0: 7F100280
	v_mov_b32_e32 v137, 0                                      // 0000000023D4: 7F120280
	v_mov_b32_e32 v138, 0                                      // 0000000023D8: 7F140280
	v_mov_b32_e32 v139, 0                                      // 0000000023DC: 7F160280
	v_mov_b32_e32 v140, 0                                      // 0000000023E0: 7F180280
	v_mov_b32_e32 v141, 0                                      // 0000000023E4: 7F1A0280
	v_mov_b32_e32 v142, 0                                      // 0000000023E8: 7F1C0280
	v_mov_b32_e32 v143, 0                                      // 0000000023EC: 7F1E0280
	v_mov_b32_e32 v144, 0                                      // 0000000023F0: 7F200280
	v_mov_b32_e32 v145, 0                                      // 0000000023F4: 7F220280
	v_mov_b32_e32 v146, 0                                      // 0000000023F8: 7F240280
	v_mov_b32_e32 v147, 0                                      // 0000000023FC: 7F260280
	v_mov_b32_e32 v148, 0                                      // 000000002400: 7F280280
	v_mov_b32_e32 v149, 0                                      // 000000002404: 7F2A0280
	v_mov_b32_e32 v150, 0                                      // 000000002408: 7F2C0280
	v_mov_b32_e32 v151, 0                                      // 00000000240C: 7F2E0280
	v_mov_b32_e32 v152, 0                                      // 000000002410: 7F300280
	v_mov_b32_e32 v153, 0                                      // 000000002414: 7F320280
	v_mov_b32_e32 v154, 0                                      // 000000002418: 7F340280
	v_mov_b32_e32 v155, 0                                      // 00000000241C: 7F360280
	v_mov_b32_e32 v156, 0                                      // 000000002420: 7F380280
	v_mov_b32_e32 v157, 0                                      // 000000002424: 7F3A0280
	v_mov_b32_e32 v158, 0                                      // 000000002428: 7F3C0280
	v_mov_b32_e32 v159, 0                                      // 00000000242C: 7F3E0280
	v_mov_b32_e32 v160, 0                                      // 000000002430: 7F400280
	v_mov_b32_e32 v161, 0                                      // 000000002434: 7F420280
	v_mov_b32_e32 v162, 0                                      // 000000002438: 7F440280
	v_mov_b32_e32 v163, 0                                      // 00000000243C: 7F460280
	v_mov_b32_e32 v164, 0                                      // 000000002440: 7F480280
	v_mov_b32_e32 v165, 0                                      // 000000002444: 7F4A0280
	v_mov_b32_e32 v166, 0                                      // 000000002448: 7F4C0280
	v_mov_b32_e32 v167, 0                                      // 00000000244C: 7F4E0280
	v_mov_b32_e32 v168, 0                                      // 000000002450: 7F500280
	v_mov_b32_e32 v169, 0                                      // 000000002454: 7F520280
	v_mov_b32_e32 v170, 0                                      // 000000002458: 7F540280
	v_mov_b32_e32 v171, 0                                      // 00000000245C: 7F560280
	v_mov_b32_e32 v172, 0                                      // 000000002460: 7F580280
	v_mov_b32_e32 v173, 0                                      // 000000002464: 7F5A0280
	v_mov_b32_e32 v174, 0                                      // 000000002468: 7F5C0280
	v_mov_b32_e32 v175, 0                                      // 00000000246C: 7F5E0280
	v_mov_b32_e32 v176, 0                                      // 000000002470: 7F600280
	v_mov_b32_e32 v177, 0                                      // 000000002474: 7F620280
	v_mov_b32_e32 v178, 0                                      // 000000002478: 7F640280
	v_mov_b32_e32 v179, 0                                      // 00000000247C: 7F660280
	v_mov_b32_e32 v180, 0                                      // 000000002480: 7F680280
	v_mov_b32_e32 v181, 0                                      // 000000002484: 7F6A0280
	v_mov_b32_e32 v182, 0                                      // 000000002488: 7F6C0280
	v_mov_b32_e32 v183, 0                                      // 00000000248C: 7F6E0280
	v_mov_b32_e32 v184, 0                                      // 000000002490: 7F700280
	v_mov_b32_e32 v185, 0                                      // 000000002494: 7F720280
	v_mov_b32_e32 v186, 0                                      // 000000002498: 7F740280
	v_mov_b32_e32 v187, 0                                      // 00000000249C: 7F760280
	v_mov_b32_e32 v188, 0                                      // 0000000024A0: 7F780280
	v_mov_b32_e32 v189, 0                                      // 0000000024A4: 7F7A0280
	v_mov_b32_e32 v190, 0                                      // 0000000024A8: 7F7C0280
	v_mov_b32_e32 v191, 0                                      // 0000000024AC: 7F7E0280
	v_lshrrev_b32_e32 v54, 4, v0                               // 0000000024B0: 206C0084
	v_mul_i32_i24_e32 v3, 34, v54                              // 0000000024B4: 0C066CA2
	v_and_b32_e32 v54, 15, v0                                  // 0000000024B8: 266C008F
	v_mul_i32_i24_e32 v55, 2, v54                              // 0000000024BC: 0C6E6C82
	v_add_u32_e32 v3, v55, v3                                  // 0000000024C0: 68060737
	s_mul_i32 s60, s7, 0x88                                    // 0000000024C4: 923CFF07 00000088
	v_add_u32_e32 v3, s60, v3                                  // 0000000024CC: 6806063C
	v_lshlrev_b32_e32 v3, 2, v3                                // 0000000024D0: 24060682
	v_lshrrev_b32_e32 v54, 1, v0                               // 0000000024D4: 206C0081
	v_mul_i32_i24_e32 v4, 34, v54                              // 0000000024D8: 0C086CA2
	v_and_b32_e32 v55, 1, v0                                   // 0000000024DC: 266E0081
	v_add_u32_e32 v4, v55, v4                                  // 0000000024E0: 68080937
	s_mul_i32 s60, s7, 2                                       // 0000000024E4: 923C8207
	v_add_u32_e32 v4, s60, v4                                  // 0000000024E8: 6808083C
	v_lshlrev_b32_e32 v4, 2, v4                                // 0000000024EC: 24080882
	s_waitcnt vmcnt(40)                                        // 0000000024F0: BF8C8F78
	s_barrier                                                  // 0000000024F4: BF8A0000
	ds_read_b128 v[64:67], v2                                  // 0000000024F8: D9FE0000 40000002
	ds_read_b128 v[68:71], v2 offset:64                        // 000000002500: D9FE0040 44000002
	ds_read_b128 v[72:75], v2 offset:128                       // 000000002508: D9FE0080 48000002
	ds_read_b128 v[76:79], v2 offset:192                       // 000000002510: D9FE00C0 4C000002
	ds_read_b128 v[80:83], v2 offset:1024                      // 000000002518: D9FE0400 50000002
	ds_read_b128 v[84:87], v2 offset:1088                      // 000000002520: D9FE0440 54000002
	ds_read_b128 v[88:91], v2 offset:1152                      // 000000002528: D9FE0480 58000002
	ds_read_b128 v[92:95], v2 offset:1216                      // 000000002530: D9FE04C0 5C000002
	s_cmp_lt_i32 s7, 2                                         // 000000002538: BF048207
	s_cbranch_scc0 label_0EDB                                  // 00000000253C: BF840AB9

0000000000002540 <label_0212>:
	s_waitcnt vmcnt(24) lgkmcnt(0)                             // 000000002540: BF8C4078
	s_barrier                                                  // 000000002544: BF8A0000
	v_mfma_f32_16x16x16_f16 v[128:131], a[0:1], v[64:65], v[128:131]// 000000002548: D3CD0080 0E028100
	v_mfma_f32_16x16x16_f16 v[128:131], a[2:3], v[66:67], v[128:131]// 000000002550: D3CD0080 0E028502
	buffer_load_dwordx4 a[128:131], v26, s[20:23], 0 offen     // 000000002558: E05C1000 8085801A
	v_mfma_f32_16x16x16_f16 v[128:131], a[4:5], v[68:69], v[128:131]// 000000002560: D3CD0080 0E028904
	v_mfma_f32_16x16x16_f16 v[128:131], a[6:7], v[70:71], v[128:131]// 000000002568: D3CD0080 0E028D06
	buffer_load_dword v10, s[16:19], 0 offen lds               // 000000002570: E0511000 8004000A
	s_add_u32 m0, 0x100, s36                                   // 000000002578: 807C24FF 00000100
	v_mfma_f32_16x16x16_f16 v[128:131], a[8:9], v[72:73], v[128:131]// 000000002580: D3CD0080 0E029108
	v_mfma_f32_16x16x16_f16 v[128:131], a[10:11], v[74:75], v[128:131]// 000000002588: D3CD0080 0E02950A
	buffer_load_dwordx4 a[132:135], v26, s[20:23], 0 offen offset:1024// 000000002590: E05C1400 8085841A
	v_mfma_f32_16x16x16_f16 v[128:131], a[12:13], v[76:77], v[128:131]// 000000002598: D3CD0080 0E02990C
	v_mfma_f32_16x16x16_f16 v[128:131], a[14:15], v[78:79], v[128:131]// 0000000025A0: D3CD0080 0E029D0E
	buffer_load_dword v11, s[16:19], 0 offen lds               // 0000000025A8: E0511000 8004000B
	s_add_u32 m0, 0x200, s36                                   // 0000000025B0: 807C24FF 00000200
	v_mfma_f32_16x16x16_f16 v[132:135], a[0:1], v[80:81], v[132:135]// 0000000025B8: D3CD0084 0E12A100
	v_mfma_f32_16x16x16_f16 v[132:135], a[2:3], v[82:83], v[132:135]// 0000000025C0: D3CD0084 0E12A502
	buffer_load_dwordx4 a[136:139], v26, s[20:23], 0 offen offset:2048// 0000000025C8: E05C1800 8085881A
	v_mfma_f32_16x16x16_f16 v[132:135], a[4:5], v[84:85], v[132:135]// 0000000025D0: D3CD0084 0E12A904
	v_mfma_f32_16x16x16_f16 v[132:135], a[6:7], v[86:87], v[132:135]// 0000000025D8: D3CD0084 0E12AD06
	buffer_load_dword v12, s[16:19], 0 offen lds               // 0000000025E0: E0511000 8004000C
	s_add_u32 m0, 0x300, s36                                   // 0000000025E8: 807C24FF 00000300
	v_mfma_f32_16x16x16_f16 v[132:135], a[8:9], v[88:89], v[132:135]// 0000000025F0: D3CD0084 0E12B108
	v_mfma_f32_16x16x16_f16 v[132:135], a[10:11], v[90:91], v[132:135]// 0000000025F8: D3CD0084 0E12B50A
	buffer_load_dwordx4 a[140:143], v26, s[20:23], 0 offen offset:3072// 000000002600: E05C1C00 80858C1A
	v_mfma_f32_16x16x16_f16 v[132:135], a[12:13], v[92:93], v[132:135]// 000000002608: D3CD0084 0E12B90C
	v_mfma_f32_16x16x16_f16 v[132:135], a[14:15], v[94:95], v[132:135]// 000000002610: D3CD0084 0E12BD0E
	buffer_load_dword v13, s[16:19], 0 offen lds               // 000000002618: E0511000 8004000D
	s_add_u32 m0, 0x400, s36                                   // 000000002620: 807C24FF 00000400
	v_mfma_f32_16x16x16_f16 v[136:139], a[16:17], v[64:65], v[136:139]// 000000002628: D3CD0088 0E228110
	v_mfma_f32_16x16x16_f16 v[136:139], a[18:19], v[66:67], v[136:139]// 000000002630: D3CD0088 0E228512
	buffer_load_dwordx4 a[144:147], v27, s[20:23], 0 offen     // 000000002638: E05C1000 8085901B
	v_mfma_f32_16x16x16_f16 v[136:139], a[20:21], v[68:69], v[136:139]// 000000002640: D3CD0088 0E228914
	v_mfma_f32_16x16x16_f16 v[136:139], a[22:23], v[70:71], v[136:139]// 000000002648: D3CD0088 0E228D16
	buffer_load_dword v14, s[16:19], 0 offen lds               // 000000002650: E0511000 8004000E
	s_add_u32 m0, 0x500, s36                                   // 000000002658: 807C24FF 00000500
	v_mfma_f32_16x16x16_f16 v[136:139], a[24:25], v[72:73], v[136:139]// 000000002660: D3CD0088 0E229118
	v_mfma_f32_16x16x16_f16 v[136:139], a[26:27], v[74:75], v[136:139]// 000000002668: D3CD0088 0E22951A
	buffer_load_dwordx4 a[148:151], v27, s[20:23], 0 offen offset:1024// 000000002670: E05C1400 8085941B
	v_mfma_f32_16x16x16_f16 v[136:139], a[28:29], v[76:77], v[136:139]// 000000002678: D3CD0088 0E22991C
	v_mfma_f32_16x16x16_f16 v[136:139], a[30:31], v[78:79], v[136:139]// 000000002680: D3CD0088 0E229D1E
	buffer_load_dword v15, s[16:19], 0 offen lds               // 000000002688: E0511000 8004000F
	s_add_u32 m0, 0x600, s36                                   // 000000002690: 807C24FF 00000600
	v_mfma_f32_16x16x16_f16 v[140:143], a[16:17], v[80:81], v[140:143]// 000000002698: D3CD008C 0E32A110
	v_mfma_f32_16x16x16_f16 v[140:143], a[18:19], v[82:83], v[140:143]// 0000000026A0: D3CD008C 0E32A512
	buffer_load_dwordx4 a[152:155], v27, s[20:23], 0 offen offset:2048// 0000000026A8: E05C1800 8085981B
	v_mfma_f32_16x16x16_f16 v[140:143], a[20:21], v[84:85], v[140:143]// 0000000026B0: D3CD008C 0E32A914
	v_mfma_f32_16x16x16_f16 v[140:143], a[22:23], v[86:87], v[140:143]// 0000000026B8: D3CD008C 0E32AD16
	buffer_load_dword v16, s[16:19], 0 offen lds               // 0000000026C0: E0511000 80040010
	s_add_u32 m0, 0x700, s36                                   // 0000000026C8: 807C24FF 00000700
	v_mfma_f32_16x16x16_f16 v[140:143], a[24:25], v[88:89], v[140:143]// 0000000026D0: D3CD008C 0E32B118
	v_mfma_f32_16x16x16_f16 v[140:143], a[26:27], v[90:91], v[140:143]// 0000000026D8: D3CD008C 0E32B51A
	buffer_load_dwordx4 a[156:159], v27, s[20:23], 0 offen offset:3072// 0000000026E0: E05C1C00 80859C1B
	v_mfma_f32_16x16x16_f16 v[140:143], a[28:29], v[92:93], v[140:143]// 0000000026E8: D3CD008C 0E32B91C
	v_mfma_f32_16x16x16_f16 v[140:143], a[30:31], v[94:95], v[140:143]// 0000000026F0: D3CD008C 0E32BD1E
	buffer_load_dword v17, s[16:19], 0 offen lds               // 0000000026F8: E0511000 80040011
	s_add_u32 m0, 0, s37                                       // 000000002700: 807C2580
	s_waitcnt vmcnt(32)                                        // 000000002704: BF8C8F70
	v_mfma_f32_16x16x16_f16 v[144:147], a[32:33], v[64:65], v[144:147]// 000000002708: D3CD0090 0E428120
	v_mfma_f32_16x16x16_f16 v[144:147], a[34:35], v[66:67], v[144:147]// 000000002710: D3CD0090 0E428522
	buffer_load_dwordx4 a[160:163], v28, s[20:23], 0 offen     // 000000002718: E05C1000 8085A01C
	v_mfma_f32_16x16x16_f16 v[144:147], a[36:37], v[68:69], v[144:147]// 000000002720: D3CD0090 0E428924
	v_mfma_f32_16x16x16_f16 v[144:147], a[38:39], v[70:71], v[144:147]// 000000002728: D3CD0090 0E428D26
	ds_read_b128 v[96:99], v2 offset:8320                      // 000000002730: D9FE2080 60000002
	v_mfma_f32_16x16x16_f16 v[144:147], a[40:41], v[72:73], v[144:147]// 000000002738: D3CD0090 0E429128
	v_mfma_f32_16x16x16_f16 v[144:147], a[42:43], v[74:75], v[144:147]// 000000002740: D3CD0090 0E42952A
	buffer_load_dwordx4 a[164:167], v28, s[20:23], 0 offen offset:1024// 000000002748: E05C1400 8085A41C
	v_mfma_f32_16x16x16_f16 v[144:147], a[44:45], v[76:77], v[144:147]// 000000002750: D3CD0090 0E42992C
	v_mfma_f32_16x16x16_f16 v[144:147], a[46:47], v[78:79], v[144:147]// 000000002758: D3CD0090 0E429D2E
	ds_read_b128 v[100:103], v2 offset:8384                    // 000000002760: D9FE20C0 64000002
	v_mfma_f32_16x16x16_f16 v[148:151], a[32:33], v[80:81], v[148:151]// 000000002768: D3CD0094 0E52A120
	v_mfma_f32_16x16x16_f16 v[148:151], a[34:35], v[82:83], v[148:151]// 000000002770: D3CD0094 0E52A522
	buffer_load_dwordx4 a[168:171], v28, s[20:23], 0 offen offset:2048// 000000002778: E05C1800 8085A81C
	v_mfma_f32_16x16x16_f16 v[148:151], a[36:37], v[84:85], v[148:151]// 000000002780: D3CD0094 0E52A924
	v_mfma_f32_16x16x16_f16 v[148:151], a[38:39], v[86:87], v[148:151]// 000000002788: D3CD0094 0E52AD26
	ds_read_b128 v[104:107], v2 offset:8448                    // 000000002790: D9FE2100 68000002
	v_mfma_f32_16x16x16_f16 v[148:151], a[40:41], v[88:89], v[148:151]// 000000002798: D3CD0094 0E52B128
	v_mfma_f32_16x16x16_f16 v[148:151], a[42:43], v[90:91], v[148:151]// 0000000027A0: D3CD0094 0E52B52A
	buffer_load_dwordx4 a[172:175], v28, s[20:23], 0 offen offset:3072// 0000000027A8: E05C1C00 8085AC1C
	v_mfma_f32_16x16x16_f16 v[148:151], a[44:45], v[92:93], v[148:151]// 0000000027B0: D3CD0094 0E52B92C
	v_mfma_f32_16x16x16_f16 v[148:151], a[46:47], v[94:95], v[148:151]// 0000000027B8: D3CD0094 0E52BD2E
	ds_read_b128 v[108:111], v2 offset:8512                    // 0000000027C0: D9FE2140 6C000002
	v_mfma_f32_16x16x16_f16 v[152:155], a[48:49], v[64:65], v[152:155]// 0000000027C8: D3CD0098 0E628130
	v_mfma_f32_16x16x16_f16 v[152:155], a[50:51], v[66:67], v[152:155]// 0000000027D0: D3CD0098 0E628532
	buffer_load_dwordx4 a[176:179], v29, s[20:23], 0 offen     // 0000000027D8: E05C1000 8085B01D
	v_mfma_f32_16x16x16_f16 v[152:155], a[52:53], v[68:69], v[152:155]// 0000000027E0: D3CD0098 0E628934
	v_mfma_f32_16x16x16_f16 v[152:155], a[54:55], v[70:71], v[152:155]// 0000000027E8: D3CD0098 0E628D36
	ds_read_b128 v[112:115], v2 offset:9344                    // 0000000027F0: D9FE2480 70000002
	v_mfma_f32_16x16x16_f16 v[152:155], a[56:57], v[72:73], v[152:155]// 0000000027F8: D3CD0098 0E629138
	v_mfma_f32_16x16x16_f16 v[152:155], a[58:59], v[74:75], v[152:155]// 000000002800: D3CD0098 0E62953A
	buffer_load_dwordx4 a[180:183], v29, s[20:23], 0 offen offset:1024// 000000002808: E05C1400 8085B41D
	v_mfma_f32_16x16x16_f16 v[152:155], a[60:61], v[76:77], v[152:155]// 000000002810: D3CD0098 0E62993C
	v_mfma_f32_16x16x16_f16 v[152:155], a[62:63], v[78:79], v[152:155]// 000000002818: D3CD0098 0E629D3E
	ds_read_b128 v[116:119], v2 offset:9408                    // 000000002820: D9FE24C0 74000002
	v_mfma_f32_16x16x16_f16 v[156:159], a[48:49], v[80:81], v[156:159]// 000000002828: D3CD009C 0E72A130
	v_mfma_f32_16x16x16_f16 v[156:159], a[50:51], v[82:83], v[156:159]// 000000002830: D3CD009C 0E72A532
	buffer_load_dwordx4 a[184:187], v29, s[20:23], 0 offen offset:2048// 000000002838: E05C1800 8085B81D
	v_mfma_f32_16x16x16_f16 v[156:159], a[52:53], v[84:85], v[156:159]// 000000002840: D3CD009C 0E72A934
	v_mfma_f32_16x16x16_f16 v[156:159], a[54:55], v[86:87], v[156:159]// 000000002848: D3CD009C 0E72AD36
	ds_read_b128 v[120:123], v2 offset:9472                    // 000000002850: D9FE2500 78000002
	v_mfma_f32_16x16x16_f16 v[156:159], a[56:57], v[88:89], v[156:159]// 000000002858: D3CD009C 0E72B138
	v_mfma_f32_16x16x16_f16 v[156:159], a[58:59], v[90:91], v[156:159]// 000000002860: D3CD009C 0E72B53A
	buffer_load_dwordx4 a[188:191], v29, s[20:23], 0 offen offset:3072// 000000002868: E05C1C00 8085BC1D
	v_mfma_f32_16x16x16_f16 v[156:159], a[60:61], v[92:93], v[156:159]// 000000002870: D3CD009C 0E72B93C
	v_mfma_f32_16x16x16_f16 v[156:159], a[62:63], v[94:95], v[156:159]// 000000002878: D3CD009C 0E72BD3E
	ds_read_b128 v[124:127], v2 offset:9536                    // 000000002880: D9FE2540 7C000002
	s_waitcnt vmcnt(32)                                        // 000000002888: BF8C8F70
	v_mfma_f32_16x16x16_f16 v[160:163], a[64:65], v[64:65], v[160:163]// 00000000288C: D3CD00A0 0E828140
	v_mfma_f32_16x16x16_f16 v[160:163], a[66:67], v[66:67], v[160:163]// 000000002894: D3CD00A0 0E828542
	buffer_load_dwordx4 a[192:195], v30, s[20:23], 0 offen     // 00000000289C: E05C1000 8085C01E
	v_mfma_f32_16x16x16_f16 v[160:163], a[68:69], v[68:69], v[160:163]// 0000000028A4: D3CD00A0 0E828944
	s_add_u32 s60, 0x180, s80                                  // 0000000028AC: 803C50FF 00000180
	s_cmp_lt_u32 s60, s81                                      // 0000000028B4: BF0A513C
	s_cselect_b32 s57, s57, 0                                  // 0000000028B8: 85398039
	v_mfma_f32_16x16x16_f16 v[160:163], a[70:71], v[70:71], v[160:163]// 0000000028BC: D3CD00A0 0E828D46
	v_mfma_f32_16x16x16_f16 v[160:163], a[72:73], v[72:73], v[160:163]// 0000000028C4: D3CD00A0 0E829148
	v_mfma_f32_16x16x16_f16 v[160:163], a[74:75], v[74:75], v[160:163]// 0000000028CC: D3CD00A0 0E82954A
	buffer_load_dwordx4 a[196:199], v30, s[20:23], 0 offen offset:1024// 0000000028D4: E05C1400 8085C41E
	v_mfma_f32_16x16x16_f16 v[160:163], a[76:77], v[76:77], v[160:163]// 0000000028DC: D3CD00A0 0E82994C
	s_add_u32 s60, 0x100, s80                                  // 0000000028E4: 803C50FF 00000100
	s_cmp_lt_u32 s60, s81                                      // 0000000028EC: BF0A513C
	s_cselect_b32 s58, s58, 0                                  // 0000000028F0: 853A803A
	v_mfma_f32_16x16x16_f16 v[160:163], a[78:79], v[78:79], v[160:163]// 0000000028F4: D3CD00A0 0E829D4E
	v_mfma_f32_16x16x16_f16 v[164:167], a[64:65], v[80:81], v[164:167]// 0000000028FC: D3CD00A4 0E92A140
	v_mfma_f32_16x16x16_f16 v[164:167], a[66:67], v[82:83], v[164:167]// 000000002904: D3CD00A4 0E92A542
	buffer_load_dwordx4 a[200:203], v30, s[20:23], 0 offen offset:2048// 00000000290C: E05C1800 8085C81E
	v_mfma_f32_16x16x16_f16 v[164:167], a[68:69], v[84:85], v[164:167]// 000000002914: D3CD00A4 0E92A944
	s_add_u32 s16, s57, s16                                    // 00000000291C: 80101039
	s_addc_u32 s17, 0, s17                                     // 000000002920: 82111180
	v_mfma_f32_16x16x16_f16 v[164:167], a[70:71], v[86:87], v[164:167]// 000000002924: D3CD00A4 0E92AD46
	v_mfma_f32_16x16x16_f16 v[164:167], a[72:73], v[88:89], v[164:167]// 00000000292C: D3CD00A4 0E92B148
	v_mfma_f32_16x16x16_f16 v[164:167], a[74:75], v[90:91], v[164:167]// 000000002934: D3CD00A4 0E92B54A
	buffer_load_dwordx4 a[204:207], v30, s[20:23], 0 offen offset:3072// 00000000293C: E05C1C00 8085CC1E
	v_mfma_f32_16x16x16_f16 v[164:167], a[76:77], v[92:93], v[164:167]// 000000002944: D3CD00A4 0E92B94C
	v_mfma_f32_16x16x16_f16 v[164:167], a[78:79], v[94:95], v[164:167]// 00000000294C: D3CD00A4 0E92BD4E
	v_mfma_f32_16x16x16_f16 v[168:171], a[80:81], v[64:65], v[168:171]// 000000002954: D3CD00A8 0EA28150
	v_mfma_f32_16x16x16_f16 v[168:171], a[82:83], v[66:67], v[168:171]// 00000000295C: D3CD00A8 0EA28552
	buffer_load_dwordx4 a[208:211], v31, s[20:23], 0 offen     // 000000002964: E05C1000 8085D01F
	v_mfma_f32_16x16x16_f16 v[168:171], a[84:85], v[68:69], v[168:171]// 00000000296C: D3CD00A8 0EA28954
	v_mfma_f32_16x16x16_f16 v[168:171], a[86:87], v[70:71], v[168:171]// 000000002974: D3CD00A8 0EA28D56
	v_mfma_f32_16x16x16_f16 v[168:171], a[88:89], v[72:73], v[168:171]// 00000000297C: D3CD00A8 0EA29158
	v_mfma_f32_16x16x16_f16 v[168:171], a[90:91], v[74:75], v[168:171]// 000000002984: D3CD00A8 0EA2955A
	buffer_load_dwordx4 a[212:215], v31, s[20:23], 0 offen offset:1024// 00000000298C: E05C1400 8085D41F
	v_mfma_f32_16x16x16_f16 v[168:171], a[92:93], v[76:77], v[168:171]// 000000002994: D3CD00A8 0EA2995C
	v_mfma_f32_16x16x16_f16 v[168:171], a[94:95], v[78:79], v[168:171]// 00000000299C: D3CD00A8 0EA29D5E
	v_mfma_f32_16x16x16_f16 v[172:175], a[80:81], v[80:81], v[172:175]// 0000000029A4: D3CD00AC 0EB2A150
	v_mfma_f32_16x16x16_f16 v[172:175], a[82:83], v[82:83], v[172:175]// 0000000029AC: D3CD00AC 0EB2A552
	buffer_load_dwordx4 a[216:219], v31, s[20:23], 0 offen offset:2048// 0000000029B4: E05C1800 8085D81F
	v_mfma_f32_16x16x16_f16 v[172:175], a[84:85], v[84:85], v[172:175]// 0000000029BC: D3CD00AC 0EB2A954
	v_mfma_f32_16x16x16_f16 v[172:175], a[86:87], v[86:87], v[172:175]// 0000000029C4: D3CD00AC 0EB2AD56
	v_mfma_f32_16x16x16_f16 v[172:175], a[88:89], v[88:89], v[172:175]// 0000000029CC: D3CD00AC 0EB2B158
	v_mfma_f32_16x16x16_f16 v[172:175], a[90:91], v[90:91], v[172:175]// 0000000029D4: D3CD00AC 0EB2B55A
	buffer_load_dwordx4 a[220:223], v31, s[20:23], 0 offen offset:3072// 0000000029DC: E05C1C00 8085DC1F
	v_mfma_f32_16x16x16_f16 v[172:175], a[92:93], v[92:93], v[172:175]// 0000000029E4: D3CD00AC 0EB2B95C
	v_mfma_f32_16x16x16_f16 v[172:175], a[94:95], v[94:95], v[172:175]// 0000000029EC: D3CD00AC 0EB2BD5E
	s_waitcnt vmcnt(32)                                        // 0000000029F4: BF8C8F70
	v_mfma_f32_16x16x16_f16 v[176:179], a[96:97], v[64:65], v[176:179]// 0000000029F8: D3CD00B0 0EC28160
	v_mfma_f32_16x16x16_f16 v[176:179], a[98:99], v[66:67], v[176:179]// 000000002A00: D3CD00B0 0EC28562
	buffer_load_dwordx4 a[224:227], v32, s[20:23], 0 offen     // 000000002A08: E05C1000 8085E020
	v_mfma_f32_16x16x16_f16 v[176:179], a[100:101], v[68:69], v[176:179]// 000000002A10: D3CD00B0 0EC28964
	v_mfma_f32_16x16x16_f16 v[176:179], a[102:103], v[70:71], v[176:179]// 000000002A18: D3CD00B0 0EC28D66
	v_mfma_f32_16x16x16_f16 v[176:179], a[104:105], v[72:73], v[176:179]// 000000002A20: D3CD00B0 0EC29168
	v_mfma_f32_16x16x16_f16 v[176:179], a[106:107], v[74:75], v[176:179]// 000000002A28: D3CD00B0 0EC2956A
	buffer_load_dwordx4 a[228:231], v32, s[20:23], 0 offen offset:1024// 000000002A30: E05C1400 8085E420
	v_mfma_f32_16x16x16_f16 v[176:179], a[108:109], v[76:77], v[176:179]// 000000002A38: D3CD00B0 0EC2996C
	v_mfma_f32_16x16x16_f16 v[176:179], a[110:111], v[78:79], v[176:179]// 000000002A40: D3CD00B0 0EC29D6E
	v_mfma_f32_16x16x16_f16 v[180:183], a[96:97], v[80:81], v[180:183]// 000000002A48: D3CD00B4 0ED2A160
	v_mfma_f32_16x16x16_f16 v[180:183], a[98:99], v[82:83], v[180:183]// 000000002A50: D3CD00B4 0ED2A562
	buffer_load_dwordx4 a[232:235], v32, s[20:23], 0 offen offset:2048// 000000002A58: E05C1800 8085E820
	v_mfma_f32_16x16x16_f16 v[180:183], a[100:101], v[84:85], v[180:183]// 000000002A60: D3CD00B4 0ED2A964
	v_mfma_f32_16x16x16_f16 v[180:183], a[102:103], v[86:87], v[180:183]// 000000002A68: D3CD00B4 0ED2AD66
	v_mfma_f32_16x16x16_f16 v[180:183], a[104:105], v[88:89], v[180:183]// 000000002A70: D3CD00B4 0ED2B168
	v_mfma_f32_16x16x16_f16 v[180:183], a[106:107], v[90:91], v[180:183]// 000000002A78: D3CD00B4 0ED2B56A
	buffer_load_dwordx4 a[236:239], v32, s[20:23], 0 offen offset:3072// 000000002A80: E05C1C00 8085EC20
	v_mfma_f32_16x16x16_f16 v[180:183], a[108:109], v[92:93], v[180:183]// 000000002A88: D3CD00B4 0ED2B96C
	v_mfma_f32_16x16x16_f16 v[180:183], a[110:111], v[94:95], v[180:183]// 000000002A90: D3CD00B4 0ED2BD6E
	v_mfma_f32_16x16x16_f16 v[184:187], a[112:113], v[64:65], v[184:187]// 000000002A98: D3CD00B8 0EE28170
	v_mfma_f32_16x16x16_f16 v[184:187], a[114:115], v[66:67], v[184:187]// 000000002AA0: D3CD00B8 0EE28572
	buffer_load_dwordx4 a[240:243], v33, s[20:23], 0 offen     // 000000002AA8: E05C1000 8085F021
	v_mfma_f32_16x16x16_f16 v[184:187], a[116:117], v[68:69], v[184:187]// 000000002AB0: D3CD00B8 0EE28974
	v_mfma_f32_16x16x16_f16 v[184:187], a[118:119], v[70:71], v[184:187]// 000000002AB8: D3CD00B8 0EE28D76
	v_mfma_f32_16x16x16_f16 v[184:187], a[120:121], v[72:73], v[184:187]// 000000002AC0: D3CD00B8 0EE29178
	v_mfma_f32_16x16x16_f16 v[184:187], a[122:123], v[74:75], v[184:187]// 000000002AC8: D3CD00B8 0EE2957A
	buffer_load_dwordx4 a[244:247], v33, s[20:23], 0 offen offset:1024// 000000002AD0: E05C1400 8085F421
	v_mfma_f32_16x16x16_f16 v[184:187], a[124:125], v[76:77], v[184:187]// 000000002AD8: D3CD00B8 0EE2997C
	v_mfma_f32_16x16x16_f16 v[184:187], a[126:127], v[78:79], v[184:187]// 000000002AE0: D3CD00B8 0EE29D7E
	v_mfma_f32_16x16x16_f16 v[188:191], a[112:113], v[80:81], v[188:191]// 000000002AE8: D3CD00BC 0EF2A170
	v_mfma_f32_16x16x16_f16 v[188:191], a[114:115], v[82:83], v[188:191]// 000000002AF0: D3CD00BC 0EF2A572
	buffer_load_dwordx4 a[248:251], v33, s[20:23], 0 offen offset:2048// 000000002AF8: E05C1800 8085F821
	v_mfma_f32_16x16x16_f16 v[188:191], a[116:117], v[84:85], v[188:191]// 000000002B00: D3CD00BC 0EF2A974
	v_mfma_f32_16x16x16_f16 v[188:191], a[118:119], v[86:87], v[188:191]// 000000002B08: D3CD00BC 0EF2AD76
	v_mfma_f32_16x16x16_f16 v[188:191], a[120:121], v[88:89], v[188:191]// 000000002B10: D3CD00BC 0EF2B178
	v_mfma_f32_16x16x16_f16 v[188:191], a[122:123], v[90:91], v[188:191]// 000000002B18: D3CD00BC 0EF2B57A
	buffer_load_dwordx4 a[252:255], v33, s[20:23], 0 offen offset:3072// 000000002B20: E05C1C00 8085FC21
	v_mfma_f32_16x16x16_f16 v[188:191], a[124:125], v[92:93], v[188:191]// 000000002B28: D3CD00BC 0EF2B97C
	s_add_u32 s20, s58, s20                                    // 000000002B30: 8014143A
	s_addc_u32 s21, 0, s21                                     // 000000002B34: 82151580
	v_mfma_f32_16x16x16_f16 v[188:191], a[126:127], v[94:95], v[188:191]// 000000002B38: D3CD00BC 0EF2BD7E
	s_addk_i32 s80, 0x80                                       // 000000002B40: B7500080
	s_cmp_lt_i32 s80, s81                                      // 000000002B44: BF045150
	s_cbranch_scc0 label_0519                                  // 000000002B48: BF840184
	s_waitcnt vmcnt(24) lgkmcnt(0)                             // 000000002B4C: BF8C4078
	s_barrier                                                  // 000000002B50: BF8A0000
	v_mfma_f32_16x16x16_f16 v[128:131], a[128:129], v[96:97], v[128:131]// 000000002B54: D3CD0080 0E02C180
	v_mfma_f32_16x16x16_f16 v[128:131], a[130:131], v[98:99], v[128:131]// 000000002B5C: D3CD0080 0E02C582
	buffer_load_dwordx4 a[0:3], v26, s[20:23], 0 offen         // 000000002B64: E05C1000 8085001A
	v_mfma_f32_16x16x16_f16 v[128:131], a[132:133], v[100:101], v[128:131]// 000000002B6C: D3CD0080 0E02C984
	v_mfma_f32_16x16x16_f16 v[128:131], a[134:135], v[102:103], v[128:131]// 000000002B74: D3CD0080 0E02CD86
	buffer_load_dword v10, s[16:19], 0 offen lds               // 000000002B7C: E0511000 8004000A
	s_add_u32 m0, 0x100, s37                                   // 000000002B84: 807C25FF 00000100
	v_mfma_f32_16x16x16_f16 v[128:131], a[136:137], v[104:105], v[128:131]// 000000002B8C: D3CD0080 0E02D188
	v_mfma_f32_16x16x16_f16 v[128:131], a[138:139], v[106:107], v[128:131]// 000000002B94: D3CD0080 0E02D58A
	buffer_load_dwordx4 a[4:7], v26, s[20:23], 0 offen offset:1024// 000000002B9C: E05C1400 8085041A
	v_mfma_f32_16x16x16_f16 v[128:131], a[140:141], v[108:109], v[128:131]// 000000002BA4: D3CD0080 0E02D98C
	v_mfma_f32_16x16x16_f16 v[128:131], a[142:143], v[110:111], v[128:131]// 000000002BAC: D3CD0080 0E02DD8E
	buffer_load_dword v11, s[16:19], 0 offen lds               // 000000002BB4: E0511000 8004000B
	s_add_u32 m0, 0x200, s37                                   // 000000002BBC: 807C25FF 00000200
	v_mfma_f32_16x16x16_f16 v[132:135], a[128:129], v[112:113], v[132:135]// 000000002BC4: D3CD0084 0E12E180
	v_mfma_f32_16x16x16_f16 v[132:135], a[130:131], v[114:115], v[132:135]// 000000002BCC: D3CD0084 0E12E582
	buffer_load_dwordx4 a[8:11], v26, s[20:23], 0 offen offset:2048// 000000002BD4: E05C1800 8085081A
	v_mfma_f32_16x16x16_f16 v[132:135], a[132:133], v[116:117], v[132:135]// 000000002BDC: D3CD0084 0E12E984
	v_mfma_f32_16x16x16_f16 v[132:135], a[134:135], v[118:119], v[132:135]// 000000002BE4: D3CD0084 0E12ED86
	buffer_load_dword v12, s[16:19], 0 offen lds               // 000000002BEC: E0511000 8004000C
	s_add_u32 m0, 0x300, s37                                   // 000000002BF4: 807C25FF 00000300
	v_mfma_f32_16x16x16_f16 v[132:135], a[136:137], v[120:121], v[132:135]// 000000002BFC: D3CD0084 0E12F188
	v_mfma_f32_16x16x16_f16 v[132:135], a[138:139], v[122:123], v[132:135]// 000000002C04: D3CD0084 0E12F58A
	buffer_load_dwordx4 a[12:15], v26, s[20:23], 0 offen offset:3072// 000000002C0C: E05C1C00 80850C1A
	v_mfma_f32_16x16x16_f16 v[132:135], a[140:141], v[124:125], v[132:135]// 000000002C14: D3CD0084 0E12F98C
	v_mfma_f32_16x16x16_f16 v[132:135], a[142:143], v[126:127], v[132:135]// 000000002C1C: D3CD0084 0E12FD8E
	buffer_load_dword v13, s[16:19], 0 offen lds               // 000000002C24: E0511000 8004000D
	s_add_u32 m0, 0x400, s37                                   // 000000002C2C: 807C25FF 00000400
	v_mfma_f32_16x16x16_f16 v[136:139], a[144:145], v[96:97], v[136:139]// 000000002C34: D3CD0088 0E22C190
	v_mfma_f32_16x16x16_f16 v[136:139], a[146:147], v[98:99], v[136:139]// 000000002C3C: D3CD0088 0E22C592
	buffer_load_dwordx4 a[16:19], v27, s[20:23], 0 offen       // 000000002C44: E05C1000 8085101B
	v_mfma_f32_16x16x16_f16 v[136:139], a[148:149], v[100:101], v[136:139]// 000000002C4C: D3CD0088 0E22C994
	v_mfma_f32_16x16x16_f16 v[136:139], a[150:151], v[102:103], v[136:139]// 000000002C54: D3CD0088 0E22CD96
	buffer_load_dword v14, s[16:19], 0 offen lds               // 000000002C5C: E0511000 8004000E
	s_add_u32 m0, 0x500, s37                                   // 000000002C64: 807C25FF 00000500
	v_mfma_f32_16x16x16_f16 v[136:139], a[152:153], v[104:105], v[136:139]// 000000002C6C: D3CD0088 0E22D198
	v_mfma_f32_16x16x16_f16 v[136:139], a[154:155], v[106:107], v[136:139]// 000000002C74: D3CD0088 0E22D59A
	buffer_load_dwordx4 a[20:23], v27, s[20:23], 0 offen offset:1024// 000000002C7C: E05C1400 8085141B
	v_mfma_f32_16x16x16_f16 v[136:139], a[156:157], v[108:109], v[136:139]// 000000002C84: D3CD0088 0E22D99C
	v_mfma_f32_16x16x16_f16 v[136:139], a[158:159], v[110:111], v[136:139]// 000000002C8C: D3CD0088 0E22DD9E
	buffer_load_dword v15, s[16:19], 0 offen lds               // 000000002C94: E0511000 8004000F
	s_add_u32 m0, 0x600, s37                                   // 000000002C9C: 807C25FF 00000600
	v_mfma_f32_16x16x16_f16 v[140:143], a[144:145], v[112:113], v[140:143]// 000000002CA4: D3CD008C 0E32E190
	v_mfma_f32_16x16x16_f16 v[140:143], a[146:147], v[114:115], v[140:143]// 000000002CAC: D3CD008C 0E32E592
	buffer_load_dwordx4 a[24:27], v27, s[20:23], 0 offen offset:2048// 000000002CB4: E05C1800 8085181B
	v_mfma_f32_16x16x16_f16 v[140:143], a[148:149], v[116:117], v[140:143]// 000000002CBC: D3CD008C 0E32E994
	v_mfma_f32_16x16x16_f16 v[140:143], a[150:151], v[118:119], v[140:143]// 000000002CC4: D3CD008C 0E32ED96
	buffer_load_dword v16, s[16:19], 0 offen lds               // 000000002CCC: E0511000 80040010
	s_add_u32 m0, 0x700, s37                                   // 000000002CD4: 807C25FF 00000700
	v_mfma_f32_16x16x16_f16 v[140:143], a[152:153], v[120:121], v[140:143]// 000000002CDC: D3CD008C 0E32F198
	v_mfma_f32_16x16x16_f16 v[140:143], a[154:155], v[122:123], v[140:143]// 000000002CE4: D3CD008C 0E32F59A
	buffer_load_dwordx4 a[28:31], v27, s[20:23], 0 offen offset:3072// 000000002CEC: E05C1C00 80851C1B
	v_mfma_f32_16x16x16_f16 v[140:143], a[156:157], v[124:125], v[140:143]// 000000002CF4: D3CD008C 0E32F99C
	v_mfma_f32_16x16x16_f16 v[140:143], a[158:159], v[126:127], v[140:143]// 000000002CFC: D3CD008C 0E32FD9E
	buffer_load_dword v17, s[16:19], 0 offen lds               // 000000002D04: E0511000 80040011
	s_add_u32 m0, 0, s36                                       // 000000002D0C: 807C2480
	s_waitcnt vmcnt(32)                                        // 000000002D10: BF8C8F70
	v_mfma_f32_16x16x16_f16 v[144:147], a[160:161], v[96:97], v[144:147]// 000000002D14: D3CD0090 0E42C1A0
	v_mfma_f32_16x16x16_f16 v[144:147], a[162:163], v[98:99], v[144:147]// 000000002D1C: D3CD0090 0E42C5A2
	buffer_load_dwordx4 a[32:35], v28, s[20:23], 0 offen       // 000000002D24: E05C1000 8085201C
	v_mfma_f32_16x16x16_f16 v[144:147], a[164:165], v[100:101], v[144:147]// 000000002D2C: D3CD0090 0E42C9A4
	v_mfma_f32_16x16x16_f16 v[144:147], a[166:167], v[102:103], v[144:147]// 000000002D34: D3CD0090 0E42CDA6
	ds_read_b128 v[64:67], v2                                  // 000000002D3C: D9FE0000 40000002
	v_mfma_f32_16x16x16_f16 v[144:147], a[168:169], v[104:105], v[144:147]// 000000002D44: D3CD0090 0E42D1A8
	v_mfma_f32_16x16x16_f16 v[144:147], a[170:171], v[106:107], v[144:147]// 000000002D4C: D3CD0090 0E42D5AA
	buffer_load_dwordx4 a[36:39], v28, s[20:23], 0 offen offset:1024// 000000002D54: E05C1400 8085241C
	v_mfma_f32_16x16x16_f16 v[144:147], a[172:173], v[108:109], v[144:147]// 000000002D5C: D3CD0090 0E42D9AC
	v_mfma_f32_16x16x16_f16 v[144:147], a[174:175], v[110:111], v[144:147]// 000000002D64: D3CD0090 0E42DDAE
	ds_read_b128 v[68:71], v2 offset:64                        // 000000002D6C: D9FE0040 44000002
	v_mfma_f32_16x16x16_f16 v[148:151], a[160:161], v[112:113], v[148:151]// 000000002D74: D3CD0094 0E52E1A0
	v_mfma_f32_16x16x16_f16 v[148:151], a[162:163], v[114:115], v[148:151]// 000000002D7C: D3CD0094 0E52E5A2
	buffer_load_dwordx4 a[40:43], v28, s[20:23], 0 offen offset:2048// 000000002D84: E05C1800 8085281C
	v_mfma_f32_16x16x16_f16 v[148:151], a[164:165], v[116:117], v[148:151]// 000000002D8C: D3CD0094 0E52E9A4
	v_mfma_f32_16x16x16_f16 v[148:151], a[166:167], v[118:119], v[148:151]// 000000002D94: D3CD0094 0E52EDA6
	ds_read_b128 v[72:75], v2 offset:128                       // 000000002D9C: D9FE0080 48000002
	v_mfma_f32_16x16x16_f16 v[148:151], a[168:169], v[120:121], v[148:151]// 000000002DA4: D3CD0094 0E52F1A8
	v_mfma_f32_16x16x16_f16 v[148:151], a[170:171], v[122:123], v[148:151]// 000000002DAC: D3CD0094 0E52F5AA
	buffer_load_dwordx4 a[44:47], v28, s[20:23], 0 offen offset:3072// 000000002DB4: E05C1C00 80852C1C
	v_mfma_f32_16x16x16_f16 v[148:151], a[172:173], v[124:125], v[148:151]// 000000002DBC: D3CD0094 0E52F9AC
	v_mfma_f32_16x16x16_f16 v[148:151], a[174:175], v[126:127], v[148:151]// 000000002DC4: D3CD0094 0E52FDAE
	ds_read_b128 v[76:79], v2 offset:192                       // 000000002DCC: D9FE00C0 4C000002
	v_mfma_f32_16x16x16_f16 v[152:155], a[176:177], v[96:97], v[152:155]// 000000002DD4: D3CD0098 0E62C1B0
	v_mfma_f32_16x16x16_f16 v[152:155], a[178:179], v[98:99], v[152:155]// 000000002DDC: D3CD0098 0E62C5B2
	buffer_load_dwordx4 a[48:51], v29, s[20:23], 0 offen       // 000000002DE4: E05C1000 8085301D
	v_mfma_f32_16x16x16_f16 v[152:155], a[180:181], v[100:101], v[152:155]// 000000002DEC: D3CD0098 0E62C9B4
	v_mfma_f32_16x16x16_f16 v[152:155], a[182:183], v[102:103], v[152:155]// 000000002DF4: D3CD0098 0E62CDB6
	ds_read_b128 v[80:83], v2 offset:1024                      // 000000002DFC: D9FE0400 50000002
	v_mfma_f32_16x16x16_f16 v[152:155], a[184:185], v[104:105], v[152:155]// 000000002E04: D3CD0098 0E62D1B8
	v_mfma_f32_16x16x16_f16 v[152:155], a[186:187], v[106:107], v[152:155]// 000000002E0C: D3CD0098 0E62D5BA
	buffer_load_dwordx4 a[52:55], v29, s[20:23], 0 offen offset:1024// 000000002E14: E05C1400 8085341D
	v_mfma_f32_16x16x16_f16 v[152:155], a[188:189], v[108:109], v[152:155]// 000000002E1C: D3CD0098 0E62D9BC
	v_mfma_f32_16x16x16_f16 v[152:155], a[190:191], v[110:111], v[152:155]// 000000002E24: D3CD0098 0E62DDBE
	ds_read_b128 v[84:87], v2 offset:1088                      // 000000002E2C: D9FE0440 54000002
	v_mfma_f32_16x16x16_f16 v[156:159], a[176:177], v[112:113], v[156:159]// 000000002E34: D3CD009C 0E72E1B0
	v_mfma_f32_16x16x16_f16 v[156:159], a[178:179], v[114:115], v[156:159]// 000000002E3C: D3CD009C 0E72E5B2
	buffer_load_dwordx4 a[56:59], v29, s[20:23], 0 offen offset:2048// 000000002E44: E05C1800 8085381D
	v_mfma_f32_16x16x16_f16 v[156:159], a[180:181], v[116:117], v[156:159]// 000000002E4C: D3CD009C 0E72E9B4
	v_mfma_f32_16x16x16_f16 v[156:159], a[182:183], v[118:119], v[156:159]// 000000002E54: D3CD009C 0E72EDB6
	ds_read_b128 v[88:91], v2 offset:1152                      // 000000002E5C: D9FE0480 58000002
	v_mfma_f32_16x16x16_f16 v[156:159], a[184:185], v[120:121], v[156:159]// 000000002E64: D3CD009C 0E72F1B8
	v_mfma_f32_16x16x16_f16 v[156:159], a[186:187], v[122:123], v[156:159]// 000000002E6C: D3CD009C 0E72F5BA
	buffer_load_dwordx4 a[60:63], v29, s[20:23], 0 offen offset:3072// 000000002E74: E05C1C00 80853C1D
	v_mfma_f32_16x16x16_f16 v[156:159], a[188:189], v[124:125], v[156:159]// 000000002E7C: D3CD009C 0E72F9BC
	v_mfma_f32_16x16x16_f16 v[156:159], a[190:191], v[126:127], v[156:159]// 000000002E84: D3CD009C 0E72FDBE
	ds_read_b128 v[92:95], v2 offset:1216                      // 000000002E8C: D9FE04C0 5C000002
	s_waitcnt vmcnt(32)                                        // 000000002E94: BF8C8F70
	v_mfma_f32_16x16x16_f16 v[160:163], a[192:193], v[96:97], v[160:163]// 000000002E98: D3CD00A0 0E82C1C0
	v_mfma_f32_16x16x16_f16 v[160:163], a[194:195], v[98:99], v[160:163]// 000000002EA0: D3CD00A0 0E82C5C2
	buffer_load_dwordx4 a[64:67], v30, s[20:23], 0 offen       // 000000002EA8: E05C1000 8085401E
	v_mfma_f32_16x16x16_f16 v[160:163], a[196:197], v[100:101], v[160:163]// 000000002EB0: D3CD00A0 0E82C9C4
	s_add_u32 s60, 0x180, s80                                  // 000000002EB8: 803C50FF 00000180
	s_cmp_lt_u32 s60, s81                                      // 000000002EC0: BF0A513C
	s_cselect_b32 s57, s57, 0                                  // 000000002EC4: 85398039
	v_mfma_f32_16x16x16_f16 v[160:163], a[198:199], v[102:103], v[160:163]// 000000002EC8: D3CD00A0 0E82CDC6
	v_mfma_f32_16x16x16_f16 v[160:163], a[200:201], v[104:105], v[160:163]// 000000002ED0: D3CD00A0 0E82D1C8
	v_mfma_f32_16x16x16_f16 v[160:163], a[202:203], v[106:107], v[160:163]// 000000002ED8: D3CD00A0 0E82D5CA
	buffer_load_dwordx4 a[68:71], v30, s[20:23], 0 offen offset:1024// 000000002EE0: E05C1400 8085441E
	v_mfma_f32_16x16x16_f16 v[160:163], a[204:205], v[108:109], v[160:163]// 000000002EE8: D3CD00A0 0E82D9CC
	s_add_u32 s60, 0x100, s80                                  // 000000002EF0: 803C50FF 00000100
	s_cmp_lt_u32 s60, s81                                      // 000000002EF8: BF0A513C
	s_cselect_b32 s58, s58, 0                                  // 000000002EFC: 853A803A
	v_mfma_f32_16x16x16_f16 v[160:163], a[206:207], v[110:111], v[160:163]// 000000002F00: D3CD00A0 0E82DDCE
	v_mfma_f32_16x16x16_f16 v[164:167], a[192:193], v[112:113], v[164:167]// 000000002F08: D3CD00A4 0E92E1C0
	v_mfma_f32_16x16x16_f16 v[164:167], a[194:195], v[114:115], v[164:167]// 000000002F10: D3CD00A4 0E92E5C2
	buffer_load_dwordx4 a[72:75], v30, s[20:23], 0 offen offset:2048// 000000002F18: E05C1800 8085481E
	v_mfma_f32_16x16x16_f16 v[164:167], a[196:197], v[116:117], v[164:167]// 000000002F20: D3CD00A4 0E92E9C4
	s_add_u32 s16, s57, s16                                    // 000000002F28: 80101039
	s_addc_u32 s17, 0, s17                                     // 000000002F2C: 82111180
	v_mfma_f32_16x16x16_f16 v[164:167], a[198:199], v[118:119], v[164:167]// 000000002F30: D3CD00A4 0E92EDC6
	v_mfma_f32_16x16x16_f16 v[164:167], a[200:201], v[120:121], v[164:167]// 000000002F38: D3CD00A4 0E92F1C8
	v_mfma_f32_16x16x16_f16 v[164:167], a[202:203], v[122:123], v[164:167]// 000000002F40: D3CD00A4 0E92F5CA
	buffer_load_dwordx4 a[76:79], v30, s[20:23], 0 offen offset:3072// 000000002F48: E05C1C00 80854C1E
	v_mfma_f32_16x16x16_f16 v[164:167], a[204:205], v[124:125], v[164:167]// 000000002F50: D3CD00A4 0E92F9CC
	v_mfma_f32_16x16x16_f16 v[164:167], a[206:207], v[126:127], v[164:167]// 000000002F58: D3CD00A4 0E92FDCE
	v_mfma_f32_16x16x16_f16 v[168:171], a[208:209], v[96:97], v[168:171]// 000000002F60: D3CD00A8 0EA2C1D0
	v_mfma_f32_16x16x16_f16 v[168:171], a[210:211], v[98:99], v[168:171]// 000000002F68: D3CD00A8 0EA2C5D2
	buffer_load_dwordx4 a[80:83], v31, s[20:23], 0 offen       // 000000002F70: E05C1000 8085501F
	v_mfma_f32_16x16x16_f16 v[168:171], a[212:213], v[100:101], v[168:171]// 000000002F78: D3CD00A8 0EA2C9D4
	v_mfma_f32_16x16x16_f16 v[168:171], a[214:215], v[102:103], v[168:171]// 000000002F80: D3CD00A8 0EA2CDD6
	v_mfma_f32_16x16x16_f16 v[168:171], a[216:217], v[104:105], v[168:171]// 000000002F88: D3CD00A8 0EA2D1D8
	v_mfma_f32_16x16x16_f16 v[168:171], a[218:219], v[106:107], v[168:171]// 000000002F90: D3CD00A8 0EA2D5DA
	buffer_load_dwordx4 a[84:87], v31, s[20:23], 0 offen offset:1024// 000000002F98: E05C1400 8085541F
	v_mfma_f32_16x16x16_f16 v[168:171], a[220:221], v[108:109], v[168:171]// 000000002FA0: D3CD00A8 0EA2D9DC
	v_mfma_f32_16x16x16_f16 v[168:171], a[222:223], v[110:111], v[168:171]// 000000002FA8: D3CD00A8 0EA2DDDE
	v_mfma_f32_16x16x16_f16 v[172:175], a[208:209], v[112:113], v[172:175]// 000000002FB0: D3CD00AC 0EB2E1D0
	v_mfma_f32_16x16x16_f16 v[172:175], a[210:211], v[114:115], v[172:175]// 000000002FB8: D3CD00AC 0EB2E5D2
	buffer_load_dwordx4 a[88:91], v31, s[20:23], 0 offen offset:2048// 000000002FC0: E05C1800 8085581F
	v_mfma_f32_16x16x16_f16 v[172:175], a[212:213], v[116:117], v[172:175]// 000000002FC8: D3CD00AC 0EB2E9D4
	v_mfma_f32_16x16x16_f16 v[172:175], a[214:215], v[118:119], v[172:175]// 000000002FD0: D3CD00AC 0EB2EDD6
	v_mfma_f32_16x16x16_f16 v[172:175], a[216:217], v[120:121], v[172:175]// 000000002FD8: D3CD00AC 0EB2F1D8
	v_mfma_f32_16x16x16_f16 v[172:175], a[218:219], v[122:123], v[172:175]// 000000002FE0: D3CD00AC 0EB2F5DA
	buffer_load_dwordx4 a[92:95], v31, s[20:23], 0 offen offset:3072// 000000002FE8: E05C1C00 80855C1F
	v_mfma_f32_16x16x16_f16 v[172:175], a[220:221], v[124:125], v[172:175]// 000000002FF0: D3CD00AC 0EB2F9DC
	v_mfma_f32_16x16x16_f16 v[172:175], a[222:223], v[126:127], v[172:175]// 000000002FF8: D3CD00AC 0EB2FDDE
	s_waitcnt vmcnt(32)                                        // 000000003000: BF8C8F70
	v_mfma_f32_16x16x16_f16 v[176:179], a[224:225], v[96:97], v[176:179]// 000000003004: D3CD00B0 0EC2C1E0
	v_mfma_f32_16x16x16_f16 v[176:179], a[226:227], v[98:99], v[176:179]// 00000000300C: D3CD00B0 0EC2C5E2
	buffer_load_dwordx4 a[96:99], v32, s[20:23], 0 offen       // 000000003014: E05C1000 80856020
	v_mfma_f32_16x16x16_f16 v[176:179], a[228:229], v[100:101], v[176:179]// 00000000301C: D3CD00B0 0EC2C9E4
	v_mfma_f32_16x16x16_f16 v[176:179], a[230:231], v[102:103], v[176:179]// 000000003024: D3CD00B0 0EC2CDE6
	v_mfma_f32_16x16x16_f16 v[176:179], a[232:233], v[104:105], v[176:179]// 00000000302C: D3CD00B0 0EC2D1E8
	v_mfma_f32_16x16x16_f16 v[176:179], a[234:235], v[106:107], v[176:179]// 000000003034: D3CD00B0 0EC2D5EA
	buffer_load_dwordx4 a[100:103], v32, s[20:23], 0 offen offset:1024// 00000000303C: E05C1400 80856420
	v_mfma_f32_16x16x16_f16 v[176:179], a[236:237], v[108:109], v[176:179]// 000000003044: D3CD00B0 0EC2D9EC
	v_mfma_f32_16x16x16_f16 v[176:179], a[238:239], v[110:111], v[176:179]// 00000000304C: D3CD00B0 0EC2DDEE
	v_mfma_f32_16x16x16_f16 v[180:183], a[224:225], v[112:113], v[180:183]// 000000003054: D3CD00B4 0ED2E1E0
	v_mfma_f32_16x16x16_f16 v[180:183], a[226:227], v[114:115], v[180:183]// 00000000305C: D3CD00B4 0ED2E5E2
	buffer_load_dwordx4 a[104:107], v32, s[20:23], 0 offen offset:2048// 000000003064: E05C1800 80856820
	v_mfma_f32_16x16x16_f16 v[180:183], a[228:229], v[116:117], v[180:183]// 00000000306C: D3CD00B4 0ED2E9E4
	v_mfma_f32_16x16x16_f16 v[180:183], a[230:231], v[118:119], v[180:183]// 000000003074: D3CD00B4 0ED2EDE6
	v_mfma_f32_16x16x16_f16 v[180:183], a[232:233], v[120:121], v[180:183]// 00000000307C: D3CD00B4 0ED2F1E8
	v_mfma_f32_16x16x16_f16 v[180:183], a[234:235], v[122:123], v[180:183]// 000000003084: D3CD00B4 0ED2F5EA
	buffer_load_dwordx4 a[108:111], v32, s[20:23], 0 offen offset:3072// 00000000308C: E05C1C00 80856C20
	v_mfma_f32_16x16x16_f16 v[180:183], a[236:237], v[124:125], v[180:183]// 000000003094: D3CD00B4 0ED2F9EC
	v_mfma_f32_16x16x16_f16 v[180:183], a[238:239], v[126:127], v[180:183]// 00000000309C: D3CD00B4 0ED2FDEE
	v_mfma_f32_16x16x16_f16 v[184:187], a[240:241], v[96:97], v[184:187]// 0000000030A4: D3CD00B8 0EE2C1F0
	v_mfma_f32_16x16x16_f16 v[184:187], a[242:243], v[98:99], v[184:187]// 0000000030AC: D3CD00B8 0EE2C5F2
	buffer_load_dwordx4 a[112:115], v33, s[20:23], 0 offen     // 0000000030B4: E05C1000 80857021
	v_mfma_f32_16x16x16_f16 v[184:187], a[244:245], v[100:101], v[184:187]// 0000000030BC: D3CD00B8 0EE2C9F4
	v_mfma_f32_16x16x16_f16 v[184:187], a[246:247], v[102:103], v[184:187]// 0000000030C4: D3CD00B8 0EE2CDF6
	v_mfma_f32_16x16x16_f16 v[184:187], a[248:249], v[104:105], v[184:187]// 0000000030CC: D3CD00B8 0EE2D1F8
	v_mfma_f32_16x16x16_f16 v[184:187], a[250:251], v[106:107], v[184:187]// 0000000030D4: D3CD00B8 0EE2D5FA
	buffer_load_dwordx4 a[116:119], v33, s[20:23], 0 offen offset:1024// 0000000030DC: E05C1400 80857421
	v_mfma_f32_16x16x16_f16 v[184:187], a[252:253], v[108:109], v[184:187]// 0000000030E4: D3CD00B8 0EE2D9FC
	v_mfma_f32_16x16x16_f16 v[184:187], a[254:255], v[110:111], v[184:187]// 0000000030EC: D3CD00B8 0EE2DDFE
	v_mfma_f32_16x16x16_f16 v[188:191], a[240:241], v[112:113], v[188:191]// 0000000030F4: D3CD00BC 0EF2E1F0
	v_mfma_f32_16x16x16_f16 v[188:191], a[242:243], v[114:115], v[188:191]// 0000000030FC: D3CD00BC 0EF2E5F2
	buffer_load_dwordx4 a[120:123], v33, s[20:23], 0 offen offset:2048// 000000003104: E05C1800 80857821
	v_mfma_f32_16x16x16_f16 v[188:191], a[244:245], v[116:117], v[188:191]// 00000000310C: D3CD00BC 0EF2E9F4
	v_mfma_f32_16x16x16_f16 v[188:191], a[246:247], v[118:119], v[188:191]// 000000003114: D3CD00BC 0EF2EDF6
	v_mfma_f32_16x16x16_f16 v[188:191], a[248:249], v[120:121], v[188:191]// 00000000311C: D3CD00BC 0EF2F1F8
	v_mfma_f32_16x16x16_f16 v[188:191], a[250:251], v[122:123], v[188:191]// 000000003124: D3CD00BC 0EF2F5FA
	buffer_load_dwordx4 a[124:127], v33, s[20:23], 0 offen offset:3072// 00000000312C: E05C1C00 80857C21
	v_mfma_f32_16x16x16_f16 v[188:191], a[252:253], v[124:125], v[188:191]// 000000003134: D3CD00BC 0EF2F9FC
	s_add_u32 s20, s58, s20                                    // 00000000313C: 8014143A
	s_addc_u32 s21, 0, s21                                     // 000000003140: 82151580
	v_mfma_f32_16x16x16_f16 v[188:191], a[254:255], v[126:127], v[188:191]// 000000003144: D3CD00BC 0EF2FDFE
	s_addk_i32 s80, 0x80                                       // 00000000314C: B7500080
	s_cmp_lt_i32 s80, s81                                      // 000000003150: BF045150
	s_cbranch_scc0 label_0519                                  // 000000003154: BF840001
	s_branch label_0212                                        // 000000003158: BF82FCF9

000000000000315c <label_0519>:
	s_mov_b32 s38, -1                                          // 00000000315C: BEA600C1
	s_mov_b32 s39, -1                                          // 000000003160: BEA700C1
	s_mov_b64 s[60:61], 0                                      // 000000003164: BEBC0180
	s_cmp_lt_u32 s82, s66                                      // 000000003168: BF0A4252
	s_cselect_b64 s[16:17], s[38:39], s[60:61]                 // 00000000316C: 85903C26
	s_cmp_lt_u32 s83, s66                                      // 000000003170: BF0A4253
	s_cselect_b64 s[18:19], s[38:39], s[60:61]                 // 000000003174: 85923C26
	s_cmp_lt_u32 s84, s66                                      // 000000003178: BF0A4254
	s_cselect_b64 s[20:21], s[38:39], s[60:61]                 // 00000000317C: 85943C26
	s_cmp_lt_u32 s85, s66                                      // 000000003180: BF0A4255
	s_cselect_b64 s[22:23], s[38:39], s[60:61]                 // 000000003184: 85963C26
	s_cmp_lt_u32 s86, s66                                      // 000000003188: BF0A4256
	s_cselect_b64 s[24:25], s[38:39], s[60:61]                 // 00000000318C: 85983C26
	s_cmp_lt_u32 s87, s66                                      // 000000003190: BF0A4257
	s_cselect_b64 s[26:27], s[38:39], s[60:61]                 // 000000003194: 859A3C26
	s_cmp_lt_u32 s88, s66                                      // 000000003198: BF0A4258
	s_cselect_b64 s[28:29], s[38:39], s[60:61]                 // 00000000319C: 859C3C26
	s_cmp_lt_u32 s52, s66                                      // 0000000031A0: BF0A4234
	s_cselect_b64 s[30:31], s[38:39], s[60:61]                 // 0000000031A4: 859E3C26
	s_waitcnt vmcnt(24)                                        // 0000000031A8: BF8C4F78
	buffer_load_dwordx4 a[0:3], v18, s[12:15], 0 offen         // 0000000031AC: E05C1000 80830012
	v_mul_f32_e32 v54, v128, v128                              // 0000000031B4: 0A6D0180
	v_mul_f32_e32 v55, v129, v129                              // 0000000031B8: 0A6F0381
	v_mul_f32_e32 v56, v130, v130                              // 0000000031BC: 0A710582
	v_mul_f32_e32 v57, v131, v131                              // 0000000031C0: 0A730783
	v_fma_f32 v54, v54, s77, v5                                // 0000000031C4: D1CB0036 04149B36
	v_fma_f32 v55, v55, s77, v5                                // 0000000031CC: D1CB0037 04149B37
	v_fma_f32 v56, v56, s77, v5                                // 0000000031D4: D1CB0038 04149B38
	v_fma_f32 v57, v57, s77, v5                                // 0000000031DC: D1CB0039 04149B39
	v_mul_f32_e32 v54, v54, v128                               // 0000000031E4: 0A6D0136
	v_mul_f32_e32 v55, v55, v129                               // 0000000031E8: 0A6F0337
	v_mul_f32_e32 v56, v56, v130                               // 0000000031EC: 0A710538
	v_mul_f32_e32 v57, v57, v131                               // 0000000031F0: 0A730739
	v_mul_f32_e64 v54, v54, s6                                 // 0000000031F4: D1050036 00000D36
	v_mul_f32_e64 v55, v55, s6                                 // 0000000031FC: D1050037 00000D37
	v_mul_f32_e64 v56, v56, s6                                 // 000000003204: D1050038 00000D38
	v_mul_f32_e64 v57, v57, s6                                 // 00000000320C: D1050039 00000D39
	v_exp_f32_e32 v54, v54                                     // 000000003214: 7E6C4136
	v_exp_f32_e32 v55, v55                                     // 000000003218: 7E6E4137
	v_exp_f32_e32 v56, v56                                     // 00000000321C: 7E704138
	buffer_load_dwordx4 a[4:7], v18, s[12:15], 0 offen offset:1024// 000000003220: E05C1400 80830412
	v_exp_f32_e32 v57, v57                                     // 000000003228: 7E724139
	v_add_f32_e64 v54, v54, 1.0                                // 00000000322C: D1010036 0001E536
	v_add_f32_e64 v55, v55, 1.0                                // 000000003234: D1010037 0001E537
	v_add_f32_e64 v56, v56, 1.0                                // 00000000323C: D1010038 0001E538
	v_add_f32_e64 v57, v57, 1.0                                // 000000003244: D1010039 0001E539
	v_rcp_f32_e32 v54, v54                                     // 00000000324C: 7E6C4536
	v_rcp_f32_e32 v55, v55                                     // 000000003250: 7E6E4537
	v_rcp_f32_e32 v56, v56                                     // 000000003254: 7E704538
	v_rcp_f32_e32 v57, v57                                     // 000000003258: 7E724539
	v_mul_f32_e32 v128, v128, v54                              // 00000000325C: 0B006D80
	v_mul_f32_e32 v129, v129, v55                              // 000000003260: 0B026F81
	v_mul_f32_e32 v130, v130, v56                              // 000000003264: 0B047182
	v_mul_f32_e32 v131, v131, v57                              // 000000003268: 0B067383
	buffer_load_dwordx4 a[8:11], v18, s[12:15], 0 offen offset:2048// 00000000326C: E05C1800 80830812
	v_mul_f32_e32 v54, v132, v132                              // 000000003274: 0A6D0984
	v_mul_f32_e32 v55, v133, v133                              // 000000003278: 0A6F0B85
	v_mul_f32_e32 v56, v134, v134                              // 00000000327C: 0A710D86
	v_mul_f32_e32 v57, v135, v135                              // 000000003280: 0A730F87
	v_fma_f32 v54, v54, s77, v5                                // 000000003284: D1CB0036 04149B36
	v_fma_f32 v55, v55, s77, v5                                // 00000000328C: D1CB0037 04149B37
	v_fma_f32 v56, v56, s77, v5                                // 000000003294: D1CB0038 04149B38
	v_fma_f32 v57, v57, s77, v5                                // 00000000329C: D1CB0039 04149B39
	v_mul_f32_e32 v54, v54, v132                               // 0000000032A4: 0A6D0936
	v_mul_f32_e32 v55, v55, v133                               // 0000000032A8: 0A6F0B37
	v_mul_f32_e32 v56, v56, v134                               // 0000000032AC: 0A710D38
	v_mul_f32_e32 v57, v57, v135                               // 0000000032B0: 0A730F39
	v_mul_f32_e64 v54, v54, s6                                 // 0000000032B4: D1050036 00000D36
	v_mul_f32_e64 v55, v55, s6                                 // 0000000032BC: D1050037 00000D37
	v_mul_f32_e64 v56, v56, s6                                 // 0000000032C4: D1050038 00000D38
	v_mul_f32_e64 v57, v57, s6                                 // 0000000032CC: D1050039 00000D39
	v_exp_f32_e32 v54, v54                                     // 0000000032D4: 7E6C4136
	v_exp_f32_e32 v55, v55                                     // 0000000032D8: 7E6E4137
	v_exp_f32_e32 v56, v56                                     // 0000000032DC: 7E704138
	buffer_load_dwordx4 a[12:15], v18, s[12:15], 0 offen offset:3072// 0000000032E0: E05C1C00 80830C12
	v_exp_f32_e32 v57, v57                                     // 0000000032E8: 7E724139
	v_add_f32_e64 v54, v54, 1.0                                // 0000000032EC: D1010036 0001E536
	v_add_f32_e64 v55, v55, 1.0                                // 0000000032F4: D1010037 0001E537
	v_add_f32_e64 v56, v56, 1.0                                // 0000000032FC: D1010038 0001E538
	v_add_f32_e64 v57, v57, 1.0                                // 000000003304: D1010039 0001E539
	v_rcp_f32_e32 v54, v54                                     // 00000000330C: 7E6C4536
	v_rcp_f32_e32 v55, v55                                     // 000000003310: 7E6E4537
	v_rcp_f32_e32 v56, v56                                     // 000000003314: 7E704538
	v_rcp_f32_e32 v57, v57                                     // 000000003318: 7E724539
	v_mul_f32_e32 v132, v132, v54                              // 00000000331C: 0B086D84
	v_mul_f32_e32 v133, v133, v55                              // 000000003320: 0B0A6F85
	v_mul_f32_e32 v134, v134, v56                              // 000000003324: 0B0C7186
	v_mul_f32_e32 v135, v135, v57                              // 000000003328: 0B0E7387
	buffer_load_dwordx4 a[16:19], v19, s[12:15], 0 offen       // 00000000332C: E05C1000 80831013
	v_mul_f32_e32 v54, v136, v136                              // 000000003334: 0A6D1188
	v_mul_f32_e32 v55, v137, v137                              // 000000003338: 0A6F1389
	v_mul_f32_e32 v56, v138, v138                              // 00000000333C: 0A71158A
	v_mul_f32_e32 v57, v139, v139                              // 000000003340: 0A73178B
	v_fma_f32 v54, v54, s77, v5                                // 000000003344: D1CB0036 04149B36
	v_fma_f32 v55, v55, s77, v5                                // 00000000334C: D1CB0037 04149B37
	v_fma_f32 v56, v56, s77, v5                                // 000000003354: D1CB0038 04149B38
	v_fma_f32 v57, v57, s77, v5                                // 00000000335C: D1CB0039 04149B39
	v_mul_f32_e32 v54, v54, v136                               // 000000003364: 0A6D1136
	v_mul_f32_e32 v55, v55, v137                               // 000000003368: 0A6F1337
	v_mul_f32_e32 v56, v56, v138                               // 00000000336C: 0A711538
	v_mul_f32_e32 v57, v57, v139                               // 000000003370: 0A731739
	v_mul_f32_e64 v54, v54, s6                                 // 000000003374: D1050036 00000D36
	v_mul_f32_e64 v55, v55, s6                                 // 00000000337C: D1050037 00000D37
	v_mul_f32_e64 v56, v56, s6                                 // 000000003384: D1050038 00000D38
	v_mul_f32_e64 v57, v57, s6                                 // 00000000338C: D1050039 00000D39
	v_exp_f32_e32 v54, v54                                     // 000000003394: 7E6C4136
	v_exp_f32_e32 v55, v55                                     // 000000003398: 7E6E4137
	v_exp_f32_e32 v56, v56                                     // 00000000339C: 7E704138
	buffer_load_dwordx4 a[20:23], v19, s[12:15], 0 offen offset:1024// 0000000033A0: E05C1400 80831413
	v_exp_f32_e32 v57, v57                                     // 0000000033A8: 7E724139
	v_add_f32_e64 v54, v54, 1.0                                // 0000000033AC: D1010036 0001E536
	v_add_f32_e64 v55, v55, 1.0                                // 0000000033B4: D1010037 0001E537
	v_add_f32_e64 v56, v56, 1.0                                // 0000000033BC: D1010038 0001E538
	v_add_f32_e64 v57, v57, 1.0                                // 0000000033C4: D1010039 0001E539
	v_rcp_f32_e32 v54, v54                                     // 0000000033CC: 7E6C4536
	v_rcp_f32_e32 v55, v55                                     // 0000000033D0: 7E6E4537
	v_rcp_f32_e32 v56, v56                                     // 0000000033D4: 7E704538
	v_rcp_f32_e32 v57, v57                                     // 0000000033D8: 7E724539
	v_mul_f32_e32 v136, v136, v54                              // 0000000033DC: 0B106D88
	v_mul_f32_e32 v137, v137, v55                              // 0000000033E0: 0B126F89
	v_mul_f32_e32 v138, v138, v56                              // 0000000033E4: 0B14718A
	v_mul_f32_e32 v139, v139, v57                              // 0000000033E8: 0B16738B
	buffer_load_dwordx4 a[24:27], v19, s[12:15], 0 offen offset:2048// 0000000033EC: E05C1800 80831813
	v_mul_f32_e32 v54, v140, v140                              // 0000000033F4: 0A6D198C
	v_mul_f32_e32 v55, v141, v141                              // 0000000033F8: 0A6F1B8D
	v_mul_f32_e32 v56, v142, v142                              // 0000000033FC: 0A711D8E
	v_mul_f32_e32 v57, v143, v143                              // 000000003400: 0A731F8F
	v_fma_f32 v54, v54, s77, v5                                // 000000003404: D1CB0036 04149B36
	v_fma_f32 v55, v55, s77, v5                                // 00000000340C: D1CB0037 04149B37
	v_fma_f32 v56, v56, s77, v5                                // 000000003414: D1CB0038 04149B38
	v_fma_f32 v57, v57, s77, v5                                // 00000000341C: D1CB0039 04149B39
	v_mul_f32_e32 v54, v54, v140                               // 000000003424: 0A6D1936
	v_mul_f32_e32 v55, v55, v141                               // 000000003428: 0A6F1B37
	v_mul_f32_e32 v56, v56, v142                               // 00000000342C: 0A711D38
	v_mul_f32_e32 v57, v57, v143                               // 000000003430: 0A731F39
	v_mul_f32_e64 v54, v54, s6                                 // 000000003434: D1050036 00000D36
	v_mul_f32_e64 v55, v55, s6                                 // 00000000343C: D1050037 00000D37
	v_mul_f32_e64 v56, v56, s6                                 // 000000003444: D1050038 00000D38
	v_mul_f32_e64 v57, v57, s6                                 // 00000000344C: D1050039 00000D39
	v_exp_f32_e32 v54, v54                                     // 000000003454: 7E6C4136
	v_exp_f32_e32 v55, v55                                     // 000000003458: 7E6E4137
	v_exp_f32_e32 v56, v56                                     // 00000000345C: 7E704138
	buffer_load_dwordx4 a[28:31], v19, s[12:15], 0 offen offset:3072// 000000003460: E05C1C00 80831C13
	v_exp_f32_e32 v57, v57                                     // 000000003468: 7E724139
	v_add_f32_e64 v54, v54, 1.0                                // 00000000346C: D1010036 0001E536
	v_add_f32_e64 v55, v55, 1.0                                // 000000003474: D1010037 0001E537
	v_add_f32_e64 v56, v56, 1.0                                // 00000000347C: D1010038 0001E538
	v_add_f32_e64 v57, v57, 1.0                                // 000000003484: D1010039 0001E539
	v_rcp_f32_e32 v54, v54                                     // 00000000348C: 7E6C4536
	v_rcp_f32_e32 v55, v55                                     // 000000003490: 7E6E4537
	v_rcp_f32_e32 v56, v56                                     // 000000003494: 7E704538
	v_rcp_f32_e32 v57, v57                                     // 000000003498: 7E724539
	v_mul_f32_e32 v140, v140, v54                              // 00000000349C: 0B186D8C
	v_mul_f32_e32 v141, v141, v55                              // 0000000034A0: 0B1A6F8D
	v_mul_f32_e32 v142, v142, v56                              // 0000000034A4: 0B1C718E
	v_mul_f32_e32 v143, v143, v57                              // 0000000034A8: 0B1E738F
	s_waitcnt vmcnt(24)                                        // 0000000034AC: BF8C4F78
	buffer_load_dwordx4 a[32:35], v20, s[12:15], 0 offen       // 0000000034B0: E05C1000 80832014
	v_mul_f32_e32 v54, v144, v144                              // 0000000034B8: 0A6D2190
	v_mul_f32_e32 v55, v145, v145                              // 0000000034BC: 0A6F2391
	v_mul_f32_e32 v56, v146, v146                              // 0000000034C0: 0A712592
	v_mul_f32_e32 v57, v147, v147                              // 0000000034C4: 0A732793
	v_fma_f32 v54, v54, s77, v5                                // 0000000034C8: D1CB0036 04149B36
	v_fma_f32 v55, v55, s77, v5                                // 0000000034D0: D1CB0037 04149B37
	v_fma_f32 v56, v56, s77, v5                                // 0000000034D8: D1CB0038 04149B38
	v_fma_f32 v57, v57, s77, v5                                // 0000000034E0: D1CB0039 04149B39
	v_mul_f32_e32 v54, v54, v144                               // 0000000034E8: 0A6D2136
	v_mul_f32_e32 v55, v55, v145                               // 0000000034EC: 0A6F2337
	v_mul_f32_e32 v56, v56, v146                               // 0000000034F0: 0A712538
	v_mul_f32_e32 v57, v57, v147                               // 0000000034F4: 0A732739
	v_mul_f32_e64 v54, v54, s6                                 // 0000000034F8: D1050036 00000D36
	v_mul_f32_e64 v55, v55, s6                                 // 000000003500: D1050037 00000D37
	v_mul_f32_e64 v56, v56, s6                                 // 000000003508: D1050038 00000D38
	v_mul_f32_e64 v57, v57, s6                                 // 000000003510: D1050039 00000D39
	v_exp_f32_e32 v54, v54                                     // 000000003518: 7E6C4136
	v_exp_f32_e32 v55, v55                                     // 00000000351C: 7E6E4137
	v_exp_f32_e32 v56, v56                                     // 000000003520: 7E704138
	buffer_load_dwordx4 a[36:39], v20, s[12:15], 0 offen offset:1024// 000000003524: E05C1400 80832414
	v_exp_f32_e32 v57, v57                                     // 00000000352C: 7E724139
	v_add_f32_e64 v54, v54, 1.0                                // 000000003530: D1010036 0001E536
	v_add_f32_e64 v55, v55, 1.0                                // 000000003538: D1010037 0001E537
	v_add_f32_e64 v56, v56, 1.0                                // 000000003540: D1010038 0001E538
	v_add_f32_e64 v57, v57, 1.0                                // 000000003548: D1010039 0001E539
	v_rcp_f32_e32 v54, v54                                     // 000000003550: 7E6C4536
	v_rcp_f32_e32 v55, v55                                     // 000000003554: 7E6E4537
	v_rcp_f32_e32 v56, v56                                     // 000000003558: 7E704538
	v_rcp_f32_e32 v57, v57                                     // 00000000355C: 7E724539
	v_mul_f32_e32 v144, v144, v54                              // 000000003560: 0B206D90
	v_mul_f32_e32 v145, v145, v55                              // 000000003564: 0B226F91
	v_mul_f32_e32 v146, v146, v56                              // 000000003568: 0B247192
	v_mul_f32_e32 v147, v147, v57                              // 00000000356C: 0B267393
	buffer_load_dwordx4 a[40:43], v20, s[12:15], 0 offen offset:2048// 000000003570: E05C1800 80832814
	v_mul_f32_e32 v54, v148, v148                              // 000000003578: 0A6D2994
	v_mul_f32_e32 v55, v149, v149                              // 00000000357C: 0A6F2B95
	v_mul_f32_e32 v56, v150, v150                              // 000000003580: 0A712D96
	v_mul_f32_e32 v57, v151, v151                              // 000000003584: 0A732F97
	v_fma_f32 v54, v54, s77, v5                                // 000000003588: D1CB0036 04149B36
	v_fma_f32 v55, v55, s77, v5                                // 000000003590: D1CB0037 04149B37
	v_fma_f32 v56, v56, s77, v5                                // 000000003598: D1CB0038 04149B38
	v_fma_f32 v57, v57, s77, v5                                // 0000000035A0: D1CB0039 04149B39
	v_mul_f32_e32 v54, v54, v148                               // 0000000035A8: 0A6D2936
	v_mul_f32_e32 v55, v55, v149                               // 0000000035AC: 0A6F2B37
	v_mul_f32_e32 v56, v56, v150                               // 0000000035B0: 0A712D38
	v_mul_f32_e32 v57, v57, v151                               // 0000000035B4: 0A732F39
	v_mul_f32_e64 v54, v54, s6                                 // 0000000035B8: D1050036 00000D36
	v_mul_f32_e64 v55, v55, s6                                 // 0000000035C0: D1050037 00000D37
	v_mul_f32_e64 v56, v56, s6                                 // 0000000035C8: D1050038 00000D38
	v_mul_f32_e64 v57, v57, s6                                 // 0000000035D0: D1050039 00000D39
	v_exp_f32_e32 v54, v54                                     // 0000000035D8: 7E6C4136
	v_exp_f32_e32 v55, v55                                     // 0000000035DC: 7E6E4137
	v_exp_f32_e32 v56, v56                                     // 0000000035E0: 7E704138
	buffer_load_dwordx4 a[44:47], v20, s[12:15], 0 offen offset:3072// 0000000035E4: E05C1C00 80832C14
	v_exp_f32_e32 v57, v57                                     // 0000000035EC: 7E724139
	v_add_f32_e64 v54, v54, 1.0                                // 0000000035F0: D1010036 0001E536
	v_add_f32_e64 v55, v55, 1.0                                // 0000000035F8: D1010037 0001E537
	v_add_f32_e64 v56, v56, 1.0                                // 000000003600: D1010038 0001E538
	v_add_f32_e64 v57, v57, 1.0                                // 000000003608: D1010039 0001E539
	v_rcp_f32_e32 v54, v54                                     // 000000003610: 7E6C4536
	v_rcp_f32_e32 v55, v55                                     // 000000003614: 7E6E4537
	v_rcp_f32_e32 v56, v56                                     // 000000003618: 7E704538
	v_rcp_f32_e32 v57, v57                                     // 00000000361C: 7E724539
	v_mul_f32_e32 v148, v148, v54                              // 000000003620: 0B286D94
	v_mul_f32_e32 v149, v149, v55                              // 000000003624: 0B2A6F95
	v_mul_f32_e32 v150, v150, v56                              // 000000003628: 0B2C7196
	v_mul_f32_e32 v151, v151, v57                              // 00000000362C: 0B2E7397
	buffer_load_dwordx4 a[48:51], v21, s[12:15], 0 offen       // 000000003630: E05C1000 80833015
	v_mul_f32_e32 v54, v152, v152                              // 000000003638: 0A6D3198
	v_mul_f32_e32 v55, v153, v153                              // 00000000363C: 0A6F3399
	v_mul_f32_e32 v56, v154, v154                              // 000000003640: 0A71359A
	v_mul_f32_e32 v57, v155, v155                              // 000000003644: 0A73379B
	v_fma_f32 v54, v54, s77, v5                                // 000000003648: D1CB0036 04149B36
	v_fma_f32 v55, v55, s77, v5                                // 000000003650: D1CB0037 04149B37
	v_fma_f32 v56, v56, s77, v5                                // 000000003658: D1CB0038 04149B38
	v_fma_f32 v57, v57, s77, v5                                // 000000003660: D1CB0039 04149B39
	v_mul_f32_e32 v54, v54, v152                               // 000000003668: 0A6D3136
	v_mul_f32_e32 v55, v55, v153                               // 00000000366C: 0A6F3337
	v_mul_f32_e32 v56, v56, v154                               // 000000003670: 0A713538
	v_mul_f32_e32 v57, v57, v155                               // 000000003674: 0A733739
	v_mul_f32_e64 v54, v54, s6                                 // 000000003678: D1050036 00000D36
	v_mul_f32_e64 v55, v55, s6                                 // 000000003680: D1050037 00000D37
	v_mul_f32_e64 v56, v56, s6                                 // 000000003688: D1050038 00000D38
	v_mul_f32_e64 v57, v57, s6                                 // 000000003690: D1050039 00000D39
	v_exp_f32_e32 v54, v54                                     // 000000003698: 7E6C4136
	v_exp_f32_e32 v55, v55                                     // 00000000369C: 7E6E4137
	v_exp_f32_e32 v56, v56                                     // 0000000036A0: 7E704138
	buffer_load_dwordx4 a[52:55], v21, s[12:15], 0 offen offset:1024// 0000000036A4: E05C1400 80833415
	v_exp_f32_e32 v57, v57                                     // 0000000036AC: 7E724139
	v_add_f32_e64 v54, v54, 1.0                                // 0000000036B0: D1010036 0001E536
	v_add_f32_e64 v55, v55, 1.0                                // 0000000036B8: D1010037 0001E537
	v_add_f32_e64 v56, v56, 1.0                                // 0000000036C0: D1010038 0001E538
	v_add_f32_e64 v57, v57, 1.0                                // 0000000036C8: D1010039 0001E539
	v_rcp_f32_e32 v54, v54                                     // 0000000036D0: 7E6C4536
	v_rcp_f32_e32 v55, v55                                     // 0000000036D4: 7E6E4537
	v_rcp_f32_e32 v56, v56                                     // 0000000036D8: 7E704538
	v_rcp_f32_e32 v57, v57                                     // 0000000036DC: 7E724539
	v_mul_f32_e32 v152, v152, v54                              // 0000000036E0: 0B306D98
	v_mul_f32_e32 v153, v153, v55                              // 0000000036E4: 0B326F99
	v_mul_f32_e32 v154, v154, v56                              // 0000000036E8: 0B34719A
	v_mul_f32_e32 v155, v155, v57                              // 0000000036EC: 0B36739B
	buffer_load_dwordx4 a[56:59], v21, s[12:15], 0 offen offset:2048// 0000000036F0: E05C1800 80833815
	v_mul_f32_e32 v54, v156, v156                              // 0000000036F8: 0A6D399C
	v_mul_f32_e32 v55, v157, v157                              // 0000000036FC: 0A6F3B9D
	v_mul_f32_e32 v56, v158, v158                              // 000000003700: 0A713D9E
	v_mul_f32_e32 v57, v159, v159                              // 000000003704: 0A733F9F
	v_fma_f32 v54, v54, s77, v5                                // 000000003708: D1CB0036 04149B36
	v_fma_f32 v55, v55, s77, v5                                // 000000003710: D1CB0037 04149B37
	v_fma_f32 v56, v56, s77, v5                                // 000000003718: D1CB0038 04149B38
	v_fma_f32 v57, v57, s77, v5                                // 000000003720: D1CB0039 04149B39
	v_mul_f32_e32 v54, v54, v156                               // 000000003728: 0A6D3936
	v_mul_f32_e32 v55, v55, v157                               // 00000000372C: 0A6F3B37
	v_mul_f32_e32 v56, v56, v158                               // 000000003730: 0A713D38
	v_mul_f32_e32 v57, v57, v159                               // 000000003734: 0A733F39
	v_mul_f32_e64 v54, v54, s6                                 // 000000003738: D1050036 00000D36
	v_mul_f32_e64 v55, v55, s6                                 // 000000003740: D1050037 00000D37
	v_mul_f32_e64 v56, v56, s6                                 // 000000003748: D1050038 00000D38
	v_mul_f32_e64 v57, v57, s6                                 // 000000003750: D1050039 00000D39
	v_exp_f32_e32 v54, v54                                     // 000000003758: 7E6C4136
	v_exp_f32_e32 v55, v55                                     // 00000000375C: 7E6E4137
	v_exp_f32_e32 v56, v56                                     // 000000003760: 7E704138
	buffer_load_dwordx4 a[60:63], v21, s[12:15], 0 offen offset:3072// 000000003764: E05C1C00 80833C15
	v_exp_f32_e32 v57, v57                                     // 00000000376C: 7E724139
	v_add_f32_e64 v54, v54, 1.0                                // 000000003770: D1010036 0001E536
	v_add_f32_e64 v55, v55, 1.0                                // 000000003778: D1010037 0001E537
	v_add_f32_e64 v56, v56, 1.0                                // 000000003780: D1010038 0001E538
	v_add_f32_e64 v57, v57, 1.0                                // 000000003788: D1010039 0001E539
	v_rcp_f32_e32 v54, v54                                     // 000000003790: 7E6C4536
	v_rcp_f32_e32 v55, v55                                     // 000000003794: 7E6E4537
	v_rcp_f32_e32 v56, v56                                     // 000000003798: 7E704538
	v_rcp_f32_e32 v57, v57                                     // 00000000379C: 7E724539
	v_mul_f32_e32 v156, v156, v54                              // 0000000037A0: 0B386D9C
	v_mul_f32_e32 v157, v157, v55                              // 0000000037A4: 0B3A6F9D
	v_mul_f32_e32 v158, v158, v56                              // 0000000037A8: 0B3C719E
	v_mul_f32_e32 v159, v159, v57                              // 0000000037AC: 0B3E739F
	s_waitcnt vmcnt(24)                                        // 0000000037B0: BF8C4F78
	buffer_load_dwordx4 a[64:67], v22, s[12:15], 0 offen       // 0000000037B4: E05C1000 80834016
	v_mul_f32_e32 v54, v160, v160                              // 0000000037BC: 0A6D41A0
	v_mul_f32_e32 v55, v161, v161                              // 0000000037C0: 0A6F43A1
	v_mul_f32_e32 v56, v162, v162                              // 0000000037C4: 0A7145A2
	v_mul_f32_e32 v57, v163, v163                              // 0000000037C8: 0A7347A3
	v_fma_f32 v54, v54, s77, v5                                // 0000000037CC: D1CB0036 04149B36
	v_fma_f32 v55, v55, s77, v5                                // 0000000037D4: D1CB0037 04149B37
	v_fma_f32 v56, v56, s77, v5                                // 0000000037DC: D1CB0038 04149B38
	v_fma_f32 v57, v57, s77, v5                                // 0000000037E4: D1CB0039 04149B39
	v_mul_f32_e32 v54, v54, v160                               // 0000000037EC: 0A6D4136
	v_mul_f32_e32 v55, v55, v161                               // 0000000037F0: 0A6F4337
	v_mul_f32_e32 v56, v56, v162                               // 0000000037F4: 0A714538
	v_mul_f32_e32 v57, v57, v163                               // 0000000037F8: 0A734739
	v_mul_f32_e64 v54, v54, s6                                 // 0000000037FC: D1050036 00000D36
	v_mul_f32_e64 v55, v55, s6                                 // 000000003804: D1050037 00000D37
	v_mul_f32_e64 v56, v56, s6                                 // 00000000380C: D1050038 00000D38
	v_mul_f32_e64 v57, v57, s6                                 // 000000003814: D1050039 00000D39
	v_exp_f32_e32 v54, v54                                     // 00000000381C: 7E6C4136
	v_exp_f32_e32 v55, v55                                     // 000000003820: 7E6E4137
	v_exp_f32_e32 v56, v56                                     // 000000003824: 7E704138
	buffer_load_dwordx4 a[68:71], v22, s[12:15], 0 offen offset:1024// 000000003828: E05C1400 80834416
	v_exp_f32_e32 v57, v57                                     // 000000003830: 7E724139
	v_add_f32_e64 v54, v54, 1.0                                // 000000003834: D1010036 0001E536
	v_add_f32_e64 v55, v55, 1.0                                // 00000000383C: D1010037 0001E537
	v_add_f32_e64 v56, v56, 1.0                                // 000000003844: D1010038 0001E538
	v_add_f32_e64 v57, v57, 1.0                                // 00000000384C: D1010039 0001E539
	v_rcp_f32_e32 v54, v54                                     // 000000003854: 7E6C4536
	v_rcp_f32_e32 v55, v55                                     // 000000003858: 7E6E4537
	v_rcp_f32_e32 v56, v56                                     // 00000000385C: 7E704538
	v_rcp_f32_e32 v57, v57                                     // 000000003860: 7E724539
	v_mul_f32_e32 v160, v160, v54                              // 000000003864: 0B406DA0
	v_mul_f32_e32 v161, v161, v55                              // 000000003868: 0B426FA1
	v_mul_f32_e32 v162, v162, v56                              // 00000000386C: 0B4471A2
	v_mul_f32_e32 v163, v163, v57                              // 000000003870: 0B4673A3
	buffer_load_dwordx4 a[72:75], v22, s[12:15], 0 offen offset:2048// 000000003874: E05C1800 80834816
	v_mul_f32_e32 v54, v164, v164                              // 00000000387C: 0A6D49A4
	v_mul_f32_e32 v55, v165, v165                              // 000000003880: 0A6F4BA5
	v_mul_f32_e32 v56, v166, v166                              // 000000003884: 0A714DA6
	v_mul_f32_e32 v57, v167, v167                              // 000000003888: 0A734FA7
	v_fma_f32 v54, v54, s77, v5                                // 00000000388C: D1CB0036 04149B36
	v_fma_f32 v55, v55, s77, v5                                // 000000003894: D1CB0037 04149B37
	v_fma_f32 v56, v56, s77, v5                                // 00000000389C: D1CB0038 04149B38
	v_fma_f32 v57, v57, s77, v5                                // 0000000038A4: D1CB0039 04149B39
	v_mul_f32_e32 v54, v54, v164                               // 0000000038AC: 0A6D4936
	v_mul_f32_e32 v55, v55, v165                               // 0000000038B0: 0A6F4B37
	v_mul_f32_e32 v56, v56, v166                               // 0000000038B4: 0A714D38
	v_mul_f32_e32 v57, v57, v167                               // 0000000038B8: 0A734F39
	v_mul_f32_e64 v54, v54, s6                                 // 0000000038BC: D1050036 00000D36
	v_mul_f32_e64 v55, v55, s6                                 // 0000000038C4: D1050037 00000D37
	v_mul_f32_e64 v56, v56, s6                                 // 0000000038CC: D1050038 00000D38
	v_mul_f32_e64 v57, v57, s6                                 // 0000000038D4: D1050039 00000D39
	v_exp_f32_e32 v54, v54                                     // 0000000038DC: 7E6C4136
	v_exp_f32_e32 v55, v55                                     // 0000000038E0: 7E6E4137
	v_exp_f32_e32 v56, v56                                     // 0000000038E4: 7E704138
	buffer_load_dwordx4 a[76:79], v22, s[12:15], 0 offen offset:3072// 0000000038E8: E05C1C00 80834C16
	v_exp_f32_e32 v57, v57                                     // 0000000038F0: 7E724139
	v_add_f32_e64 v54, v54, 1.0                                // 0000000038F4: D1010036 0001E536
	v_add_f32_e64 v55, v55, 1.0                                // 0000000038FC: D1010037 0001E537
	v_add_f32_e64 v56, v56, 1.0                                // 000000003904: D1010038 0001E538
	v_add_f32_e64 v57, v57, 1.0                                // 00000000390C: D1010039 0001E539
	v_rcp_f32_e32 v54, v54                                     // 000000003914: 7E6C4536
	v_rcp_f32_e32 v55, v55                                     // 000000003918: 7E6E4537
	v_rcp_f32_e32 v56, v56                                     // 00000000391C: 7E704538
	v_rcp_f32_e32 v57, v57                                     // 000000003920: 7E724539
	v_mul_f32_e32 v164, v164, v54                              // 000000003924: 0B486DA4
	v_mul_f32_e32 v165, v165, v55                              // 000000003928: 0B4A6FA5
	v_mul_f32_e32 v166, v166, v56                              // 00000000392C: 0B4C71A6
	v_mul_f32_e32 v167, v167, v57                              // 000000003930: 0B4E73A7
	buffer_load_dwordx4 a[80:83], v23, s[12:15], 0 offen       // 000000003934: E05C1000 80835017
	v_mul_f32_e32 v54, v168, v168                              // 00000000393C: 0A6D51A8
	v_mul_f32_e32 v55, v169, v169                              // 000000003940: 0A6F53A9
	v_mul_f32_e32 v56, v170, v170                              // 000000003944: 0A7155AA
	v_mul_f32_e32 v57, v171, v171                              // 000000003948: 0A7357AB
	v_fma_f32 v54, v54, s77, v5                                // 00000000394C: D1CB0036 04149B36
	v_fma_f32 v55, v55, s77, v5                                // 000000003954: D1CB0037 04149B37
	v_fma_f32 v56, v56, s77, v5                                // 00000000395C: D1CB0038 04149B38
	v_fma_f32 v57, v57, s77, v5                                // 000000003964: D1CB0039 04149B39
	v_mul_f32_e32 v54, v54, v168                               // 00000000396C: 0A6D5136
	v_mul_f32_e32 v55, v55, v169                               // 000000003970: 0A6F5337
	v_mul_f32_e32 v56, v56, v170                               // 000000003974: 0A715538
	v_mul_f32_e32 v57, v57, v171                               // 000000003978: 0A735739
	v_mul_f32_e64 v54, v54, s6                                 // 00000000397C: D1050036 00000D36
	v_mul_f32_e64 v55, v55, s6                                 // 000000003984: D1050037 00000D37
	v_mul_f32_e64 v56, v56, s6                                 // 00000000398C: D1050038 00000D38
	v_mul_f32_e64 v57, v57, s6                                 // 000000003994: D1050039 00000D39
	v_exp_f32_e32 v54, v54                                     // 00000000399C: 7E6C4136
	v_exp_f32_e32 v55, v55                                     // 0000000039A0: 7E6E4137
	v_exp_f32_e32 v56, v56                                     // 0000000039A4: 7E704138
	buffer_load_dwordx4 a[84:87], v23, s[12:15], 0 offen offset:1024// 0000000039A8: E05C1400 80835417
	v_exp_f32_e32 v57, v57                                     // 0000000039B0: 7E724139
	v_add_f32_e64 v54, v54, 1.0                                // 0000000039B4: D1010036 0001E536
	v_add_f32_e64 v55, v55, 1.0                                // 0000000039BC: D1010037 0001E537
	v_add_f32_e64 v56, v56, 1.0                                // 0000000039C4: D1010038 0001E538
	v_add_f32_e64 v57, v57, 1.0                                // 0000000039CC: D1010039 0001E539
	v_rcp_f32_e32 v54, v54                                     // 0000000039D4: 7E6C4536
	v_rcp_f32_e32 v55, v55                                     // 0000000039D8: 7E6E4537
	v_rcp_f32_e32 v56, v56                                     // 0000000039DC: 7E704538
	v_rcp_f32_e32 v57, v57                                     // 0000000039E0: 7E724539
	v_mul_f32_e32 v168, v168, v54                              // 0000000039E4: 0B506DA8
	v_mul_f32_e32 v169, v169, v55                              // 0000000039E8: 0B526FA9
	v_mul_f32_e32 v170, v170, v56                              // 0000000039EC: 0B5471AA
	v_mul_f32_e32 v171, v171, v57                              // 0000000039F0: 0B5673AB
	buffer_load_dwordx4 a[88:91], v23, s[12:15], 0 offen offset:2048// 0000000039F4: E05C1800 80835817
	v_mul_f32_e32 v54, v172, v172                              // 0000000039FC: 0A6D59AC
	v_mul_f32_e32 v55, v173, v173                              // 000000003A00: 0A6F5BAD
	v_mul_f32_e32 v56, v174, v174                              // 000000003A04: 0A715DAE
	v_mul_f32_e32 v57, v175, v175                              // 000000003A08: 0A735FAF
	v_fma_f32 v54, v54, s77, v5                                // 000000003A0C: D1CB0036 04149B36
	v_fma_f32 v55, v55, s77, v5                                // 000000003A14: D1CB0037 04149B37
	v_fma_f32 v56, v56, s77, v5                                // 000000003A1C: D1CB0038 04149B38
	v_fma_f32 v57, v57, s77, v5                                // 000000003A24: D1CB0039 04149B39
	v_mul_f32_e32 v54, v54, v172                               // 000000003A2C: 0A6D5936
	v_mul_f32_e32 v55, v55, v173                               // 000000003A30: 0A6F5B37
	v_mul_f32_e32 v56, v56, v174                               // 000000003A34: 0A715D38
	v_mul_f32_e32 v57, v57, v175                               // 000000003A38: 0A735F39
	v_mul_f32_e64 v54, v54, s6                                 // 000000003A3C: D1050036 00000D36
	v_mul_f32_e64 v55, v55, s6                                 // 000000003A44: D1050037 00000D37
	v_mul_f32_e64 v56, v56, s6                                 // 000000003A4C: D1050038 00000D38
	v_mul_f32_e64 v57, v57, s6                                 // 000000003A54: D1050039 00000D39
	v_exp_f32_e32 v54, v54                                     // 000000003A5C: 7E6C4136
	v_exp_f32_e32 v55, v55                                     // 000000003A60: 7E6E4137
	v_exp_f32_e32 v56, v56                                     // 000000003A64: 7E704138
	buffer_load_dwordx4 a[92:95], v23, s[12:15], 0 offen offset:3072// 000000003A68: E05C1C00 80835C17
	v_exp_f32_e32 v57, v57                                     // 000000003A70: 7E724139
	v_add_f32_e64 v54, v54, 1.0                                // 000000003A74: D1010036 0001E536
	v_add_f32_e64 v55, v55, 1.0                                // 000000003A7C: D1010037 0001E537
	v_add_f32_e64 v56, v56, 1.0                                // 000000003A84: D1010038 0001E538
	v_add_f32_e64 v57, v57, 1.0                                // 000000003A8C: D1010039 0001E539
	v_rcp_f32_e32 v54, v54                                     // 000000003A94: 7E6C4536
	v_rcp_f32_e32 v55, v55                                     // 000000003A98: 7E6E4537
	v_rcp_f32_e32 v56, v56                                     // 000000003A9C: 7E704538
	v_rcp_f32_e32 v57, v57                                     // 000000003AA0: 7E724539
	v_mul_f32_e32 v172, v172, v54                              // 000000003AA4: 0B586DAC
	v_mul_f32_e32 v173, v173, v55                              // 000000003AA8: 0B5A6FAD
	v_mul_f32_e32 v174, v174, v56                              // 000000003AAC: 0B5C71AE
	v_mul_f32_e32 v175, v175, v57                              // 000000003AB0: 0B5E73AF
	s_waitcnt vmcnt(24)                                        // 000000003AB4: BF8C4F78
	buffer_load_dwordx4 a[96:99], v24, s[12:15], 0 offen       // 000000003AB8: E05C1000 80836018
	v_mul_f32_e32 v54, v176, v176                              // 000000003AC0: 0A6D61B0
	v_mul_f32_e32 v55, v177, v177                              // 000000003AC4: 0A6F63B1
	v_mul_f32_e32 v56, v178, v178                              // 000000003AC8: 0A7165B2
	v_mul_f32_e32 v57, v179, v179                              // 000000003ACC: 0A7367B3
	v_fma_f32 v54, v54, s77, v5                                // 000000003AD0: D1CB0036 04149B36
	v_fma_f32 v55, v55, s77, v5                                // 000000003AD8: D1CB0037 04149B37
	v_fma_f32 v56, v56, s77, v5                                // 000000003AE0: D1CB0038 04149B38
	v_fma_f32 v57, v57, s77, v5                                // 000000003AE8: D1CB0039 04149B39
	v_mul_f32_e32 v54, v54, v176                               // 000000003AF0: 0A6D6136
	v_mul_f32_e32 v55, v55, v177                               // 000000003AF4: 0A6F6337
	v_mul_f32_e32 v56, v56, v178                               // 000000003AF8: 0A716538
	v_mul_f32_e32 v57, v57, v179                               // 000000003AFC: 0A736739
	v_mul_f32_e64 v54, v54, s6                                 // 000000003B00: D1050036 00000D36
	v_mul_f32_e64 v55, v55, s6                                 // 000000003B08: D1050037 00000D37
	v_mul_f32_e64 v56, v56, s6                                 // 000000003B10: D1050038 00000D38
	v_mul_f32_e64 v57, v57, s6                                 // 000000003B18: D1050039 00000D39
	v_exp_f32_e32 v54, v54                                     // 000000003B20: 7E6C4136
	v_exp_f32_e32 v55, v55                                     // 000000003B24: 7E6E4137
	v_exp_f32_e32 v56, v56                                     // 000000003B28: 7E704138
	buffer_load_dwordx4 a[100:103], v24, s[12:15], 0 offen offset:1024// 000000003B2C: E05C1400 80836418
	v_exp_f32_e32 v57, v57                                     // 000000003B34: 7E724139
	v_add_f32_e64 v54, v54, 1.0                                // 000000003B38: D1010036 0001E536
	v_add_f32_e64 v55, v55, 1.0                                // 000000003B40: D1010037 0001E537
	v_add_f32_e64 v56, v56, 1.0                                // 000000003B48: D1010038 0001E538
	v_add_f32_e64 v57, v57, 1.0                                // 000000003B50: D1010039 0001E539
	v_rcp_f32_e32 v54, v54                                     // 000000003B58: 7E6C4536
	v_rcp_f32_e32 v55, v55                                     // 000000003B5C: 7E6E4537
	v_rcp_f32_e32 v56, v56                                     // 000000003B60: 7E704538
	v_rcp_f32_e32 v57, v57                                     // 000000003B64: 7E724539
	v_mul_f32_e32 v176, v176, v54                              // 000000003B68: 0B606DB0
	v_mul_f32_e32 v177, v177, v55                              // 000000003B6C: 0B626FB1
	v_mul_f32_e32 v178, v178, v56                              // 000000003B70: 0B6471B2
	v_mul_f32_e32 v179, v179, v57                              // 000000003B74: 0B6673B3
	buffer_load_dwordx4 a[104:107], v24, s[12:15], 0 offen offset:2048// 000000003B78: E05C1800 80836818
	v_mul_f32_e32 v54, v180, v180                              // 000000003B80: 0A6D69B4
	v_mul_f32_e32 v55, v181, v181                              // 000000003B84: 0A6F6BB5
	v_mul_f32_e32 v56, v182, v182                              // 000000003B88: 0A716DB6
	v_mul_f32_e32 v57, v183, v183                              // 000000003B8C: 0A736FB7
	v_fma_f32 v54, v54, s77, v5                                // 000000003B90: D1CB0036 04149B36
	v_fma_f32 v55, v55, s77, v5                                // 000000003B98: D1CB0037 04149B37
	v_fma_f32 v56, v56, s77, v5                                // 000000003BA0: D1CB0038 04149B38
	v_fma_f32 v57, v57, s77, v5                                // 000000003BA8: D1CB0039 04149B39
	v_mul_f32_e32 v54, v54, v180                               // 000000003BB0: 0A6D6936
	v_mul_f32_e32 v55, v55, v181                               // 000000003BB4: 0A6F6B37
	v_mul_f32_e32 v56, v56, v182                               // 000000003BB8: 0A716D38
	v_mul_f32_e32 v57, v57, v183                               // 000000003BBC: 0A736F39
	v_mul_f32_e64 v54, v54, s6                                 // 000000003BC0: D1050036 00000D36
	v_mul_f32_e64 v55, v55, s6                                 // 000000003BC8: D1050037 00000D37
	v_mul_f32_e64 v56, v56, s6                                 // 000000003BD0: D1050038 00000D38
	v_mul_f32_e64 v57, v57, s6                                 // 000000003BD8: D1050039 00000D39
	v_exp_f32_e32 v54, v54                                     // 000000003BE0: 7E6C4136
	v_exp_f32_e32 v55, v55                                     // 000000003BE4: 7E6E4137
	v_exp_f32_e32 v56, v56                                     // 000000003BE8: 7E704138
	buffer_load_dwordx4 a[108:111], v24, s[12:15], 0 offen offset:3072// 000000003BEC: E05C1C00 80836C18
	v_exp_f32_e32 v57, v57                                     // 000000003BF4: 7E724139
	v_add_f32_e64 v54, v54, 1.0                                // 000000003BF8: D1010036 0001E536
	v_add_f32_e64 v55, v55, 1.0                                // 000000003C00: D1010037 0001E537
	v_add_f32_e64 v56, v56, 1.0                                // 000000003C08: D1010038 0001E538
	v_add_f32_e64 v57, v57, 1.0                                // 000000003C10: D1010039 0001E539
	v_rcp_f32_e32 v54, v54                                     // 000000003C18: 7E6C4536
	v_rcp_f32_e32 v55, v55                                     // 000000003C1C: 7E6E4537
	v_rcp_f32_e32 v56, v56                                     // 000000003C20: 7E704538
	v_rcp_f32_e32 v57, v57                                     // 000000003C24: 7E724539
	v_mul_f32_e32 v180, v180, v54                              // 000000003C28: 0B686DB4
	v_mul_f32_e32 v181, v181, v55                              // 000000003C2C: 0B6A6FB5
	v_mul_f32_e32 v182, v182, v56                              // 000000003C30: 0B6C71B6
	v_mul_f32_e32 v183, v183, v57                              // 000000003C34: 0B6E73B7
	buffer_load_dwordx4 a[112:115], v25, s[12:15], 0 offen     // 000000003C38: E05C1000 80837019
	v_mul_f32_e32 v54, v184, v184                              // 000000003C40: 0A6D71B8
	v_mul_f32_e32 v55, v185, v185                              // 000000003C44: 0A6F73B9
	v_mul_f32_e32 v56, v186, v186                              // 000000003C48: 0A7175BA
	v_mul_f32_e32 v57, v187, v187                              // 000000003C4C: 0A7377BB
	v_fma_f32 v54, v54, s77, v5                                // 000000003C50: D1CB0036 04149B36
	v_fma_f32 v55, v55, s77, v5                                // 000000003C58: D1CB0037 04149B37
	v_fma_f32 v56, v56, s77, v5                                // 000000003C60: D1CB0038 04149B38
	v_fma_f32 v57, v57, s77, v5                                // 000000003C68: D1CB0039 04149B39
	v_mul_f32_e32 v54, v54, v184                               // 000000003C70: 0A6D7136
	v_mul_f32_e32 v55, v55, v185                               // 000000003C74: 0A6F7337
	v_mul_f32_e32 v56, v56, v186                               // 000000003C78: 0A717538
	v_mul_f32_e32 v57, v57, v187                               // 000000003C7C: 0A737739
	v_mul_f32_e64 v54, v54, s6                                 // 000000003C80: D1050036 00000D36
	v_mul_f32_e64 v55, v55, s6                                 // 000000003C88: D1050037 00000D37
	v_mul_f32_e64 v56, v56, s6                                 // 000000003C90: D1050038 00000D38
	v_mul_f32_e64 v57, v57, s6                                 // 000000003C98: D1050039 00000D39
	v_exp_f32_e32 v54, v54                                     // 000000003CA0: 7E6C4136
	v_exp_f32_e32 v55, v55                                     // 000000003CA4: 7E6E4137
	v_exp_f32_e32 v56, v56                                     // 000000003CA8: 7E704138
	buffer_load_dwordx4 a[116:119], v25, s[12:15], 0 offen offset:1024// 000000003CAC: E05C1400 80837419
	v_exp_f32_e32 v57, v57                                     // 000000003CB4: 7E724139
	v_add_f32_e64 v54, v54, 1.0                                // 000000003CB8: D1010036 0001E536
	v_add_f32_e64 v55, v55, 1.0                                // 000000003CC0: D1010037 0001E537
	v_add_f32_e64 v56, v56, 1.0                                // 000000003CC8: D1010038 0001E538
	v_add_f32_e64 v57, v57, 1.0                                // 000000003CD0: D1010039 0001E539
	v_rcp_f32_e32 v54, v54                                     // 000000003CD8: 7E6C4536
	v_rcp_f32_e32 v55, v55                                     // 000000003CDC: 7E6E4537
	v_rcp_f32_e32 v56, v56                                     // 000000003CE0: 7E704538
	v_rcp_f32_e32 v57, v57                                     // 000000003CE4: 7E724539
	v_mul_f32_e32 v184, v184, v54                              // 000000003CE8: 0B706DB8
	v_mul_f32_e32 v185, v185, v55                              // 000000003CEC: 0B726FB9
	v_mul_f32_e32 v186, v186, v56                              // 000000003CF0: 0B7471BA
	v_mul_f32_e32 v187, v187, v57                              // 000000003CF4: 0B7673BB
	buffer_load_dwordx4 a[120:123], v25, s[12:15], 0 offen offset:2048// 000000003CF8: E05C1800 80837819
	v_mul_f32_e32 v54, v188, v188                              // 000000003D00: 0A6D79BC
	v_mul_f32_e32 v55, v189, v189                              // 000000003D04: 0A6F7BBD
	v_mul_f32_e32 v56, v190, v190                              // 000000003D08: 0A717DBE
	v_mul_f32_e32 v57, v191, v191                              // 000000003D0C: 0A737FBF
	v_fma_f32 v54, v54, s77, v5                                // 000000003D10: D1CB0036 04149B36
	v_fma_f32 v55, v55, s77, v5                                // 000000003D18: D1CB0037 04149B37
	v_fma_f32 v56, v56, s77, v5                                // 000000003D20: D1CB0038 04149B38
	v_fma_f32 v57, v57, s77, v5                                // 000000003D28: D1CB0039 04149B39
	v_mul_f32_e32 v54, v54, v188                               // 000000003D30: 0A6D7936
	v_mul_f32_e32 v55, v55, v189                               // 000000003D34: 0A6F7B37
	v_mul_f32_e32 v56, v56, v190                               // 000000003D38: 0A717D38
	v_mul_f32_e32 v57, v57, v191                               // 000000003D3C: 0A737F39
	v_mul_f32_e64 v54, v54, s6                                 // 000000003D40: D1050036 00000D36
	v_mul_f32_e64 v55, v55, s6                                 // 000000003D48: D1050037 00000D37
	v_mul_f32_e64 v56, v56, s6                                 // 000000003D50: D1050038 00000D38
	v_mul_f32_e64 v57, v57, s6                                 // 000000003D58: D1050039 00000D39
	v_exp_f32_e32 v54, v54                                     // 000000003D60: 7E6C4136
	v_exp_f32_e32 v55, v55                                     // 000000003D64: 7E6E4137
	v_exp_f32_e32 v56, v56                                     // 000000003D68: 7E704138
	buffer_load_dwordx4 a[124:127], v25, s[12:15], 0 offen offset:3072// 000000003D6C: E05C1C00 80837C19
	v_exp_f32_e32 v57, v57                                     // 000000003D74: 7E724139
	v_add_f32_e64 v54, v54, 1.0                                // 000000003D78: D1010036 0001E536
	v_add_f32_e64 v55, v55, 1.0                                // 000000003D80: D1010037 0001E537
	v_add_f32_e64 v56, v56, 1.0                                // 000000003D88: D1010038 0001E538
	v_add_f32_e64 v57, v57, 1.0                                // 000000003D90: D1010039 0001E539
	v_rcp_f32_e32 v54, v54                                     // 000000003D98: 7E6C4536
	v_rcp_f32_e32 v55, v55                                     // 000000003D9C: 7E6E4537
	v_rcp_f32_e32 v56, v56                                     // 000000003DA0: 7E704538
	v_rcp_f32_e32 v57, v57                                     // 000000003DA4: 7E724539
	v_mul_f32_e32 v188, v188, v54                              // 000000003DA8: 0B786DBC
	v_mul_f32_e32 v189, v189, v55                              // 000000003DAC: 0B7A6FBD
	v_mul_f32_e32 v190, v190, v56                              // 000000003DB0: 0B7C71BE
	v_mul_f32_e32 v191, v191, v57                              // 000000003DB4: 0B7E73BF
	v_cvt_f16_f32_e32 v128, v128                               // 000000003DB8: 7F001580
	v_cvt_f16_f32_sdwa v128, v129 dst_sel:WORD_1 dst_unused:UNUSED_PRESERVE src0_sel:DWORD// 000000003DBC: 7F0014F9 00061581
	v_cvt_f16_f32_e32 v129, v130                               // 000000003DC4: 7F021582
	v_cvt_f16_f32_sdwa v129, v131 dst_sel:WORD_1 dst_unused:UNUSED_PRESERVE src0_sel:DWORD// 000000003DC8: 7F0214F9 00061583
	v_cvt_f16_f32_e32 v130, v132                               // 000000003DD0: 7F041584
	v_cvt_f16_f32_sdwa v130, v133 dst_sel:WORD_1 dst_unused:UNUSED_PRESERVE src0_sel:DWORD// 000000003DD4: 7F0414F9 00061585
	v_cvt_f16_f32_e32 v131, v134                               // 000000003DDC: 7F061586
	v_cvt_f16_f32_sdwa v131, v135 dst_sel:WORD_1 dst_unused:UNUSED_PRESERVE src0_sel:DWORD// 000000003DE0: 7F0614F9 00061587
	v_cvt_f16_f32_e32 v132, v136                               // 000000003DE8: 7F081588
	v_cvt_f16_f32_sdwa v132, v137 dst_sel:WORD_1 dst_unused:UNUSED_PRESERVE src0_sel:DWORD// 000000003DEC: 7F0814F9 00061589
	v_cvt_f16_f32_e32 v133, v138                               // 000000003DF4: 7F0A158A
	v_cvt_f16_f32_sdwa v133, v139 dst_sel:WORD_1 dst_unused:UNUSED_PRESERVE src0_sel:DWORD// 000000003DF8: 7F0A14F9 0006158B
	v_cvt_f16_f32_e32 v134, v140                               // 000000003E00: 7F0C158C
	v_cvt_f16_f32_sdwa v134, v141 dst_sel:WORD_1 dst_unused:UNUSED_PRESERVE src0_sel:DWORD// 000000003E04: 7F0C14F9 0006158D
	v_cvt_f16_f32_e32 v135, v142                               // 000000003E0C: 7F0E158E
	v_cvt_f16_f32_sdwa v135, v143 dst_sel:WORD_1 dst_unused:UNUSED_PRESERVE src0_sel:DWORD// 000000003E10: 7F0E14F9 0006158F
	v_cvt_f16_f32_e32 v136, v144                               // 000000003E18: 7F101590
	v_cvt_f16_f32_sdwa v136, v145 dst_sel:WORD_1 dst_unused:UNUSED_PRESERVE src0_sel:DWORD// 000000003E1C: 7F1014F9 00061591
	v_cvt_f16_f32_e32 v137, v146                               // 000000003E24: 7F121592
	v_cvt_f16_f32_sdwa v137, v147 dst_sel:WORD_1 dst_unused:UNUSED_PRESERVE src0_sel:DWORD// 000000003E28: 7F1214F9 00061593
	v_cvt_f16_f32_e32 v138, v148                               // 000000003E30: 7F141594
	v_cvt_f16_f32_sdwa v138, v149 dst_sel:WORD_1 dst_unused:UNUSED_PRESERVE src0_sel:DWORD// 000000003E34: 7F1414F9 00061595
	v_cvt_f16_f32_e32 v139, v150                               // 000000003E3C: 7F161596
	v_cvt_f16_f32_sdwa v139, v151 dst_sel:WORD_1 dst_unused:UNUSED_PRESERVE src0_sel:DWORD// 000000003E40: 7F1614F9 00061597
	v_cvt_f16_f32_e32 v140, v152                               // 000000003E48: 7F181598
	v_cvt_f16_f32_sdwa v140, v153 dst_sel:WORD_1 dst_unused:UNUSED_PRESERVE src0_sel:DWORD// 000000003E4C: 7F1814F9 00061599
	v_cvt_f16_f32_e32 v141, v154                               // 000000003E54: 7F1A159A
	v_cvt_f16_f32_sdwa v141, v155 dst_sel:WORD_1 dst_unused:UNUSED_PRESERVE src0_sel:DWORD// 000000003E58: 7F1A14F9 0006159B
	v_cvt_f16_f32_e32 v142, v156                               // 000000003E60: 7F1C159C
	v_cvt_f16_f32_sdwa v142, v157 dst_sel:WORD_1 dst_unused:UNUSED_PRESERVE src0_sel:DWORD// 000000003E64: 7F1C14F9 0006159D
	v_cvt_f16_f32_e32 v143, v158                               // 000000003E6C: 7F1E159E
	v_cvt_f16_f32_sdwa v143, v159 dst_sel:WORD_1 dst_unused:UNUSED_PRESERVE src0_sel:DWORD// 000000003E70: 7F1E14F9 0006159F
	v_cvt_f16_f32_e32 v144, v160                               // 000000003E78: 7F2015A0
	v_cvt_f16_f32_sdwa v144, v161 dst_sel:WORD_1 dst_unused:UNUSED_PRESERVE src0_sel:DWORD// 000000003E7C: 7F2014F9 000615A1
	v_cvt_f16_f32_e32 v145, v162                               // 000000003E84: 7F2215A2
	v_cvt_f16_f32_sdwa v145, v163 dst_sel:WORD_1 dst_unused:UNUSED_PRESERVE src0_sel:DWORD// 000000003E88: 7F2214F9 000615A3
	v_cvt_f16_f32_e32 v146, v164                               // 000000003E90: 7F2415A4
	v_cvt_f16_f32_sdwa v146, v165 dst_sel:WORD_1 dst_unused:UNUSED_PRESERVE src0_sel:DWORD// 000000003E94: 7F2414F9 000615A5
	v_cvt_f16_f32_e32 v147, v166                               // 000000003E9C: 7F2615A6
	v_cvt_f16_f32_sdwa v147, v167 dst_sel:WORD_1 dst_unused:UNUSED_PRESERVE src0_sel:DWORD// 000000003EA0: 7F2614F9 000615A7
	v_cvt_f16_f32_e32 v148, v168                               // 000000003EA8: 7F2815A8
	v_cvt_f16_f32_sdwa v148, v169 dst_sel:WORD_1 dst_unused:UNUSED_PRESERVE src0_sel:DWORD// 000000003EAC: 7F2814F9 000615A9
	v_cvt_f16_f32_e32 v149, v170                               // 000000003EB4: 7F2A15AA
	v_cvt_f16_f32_sdwa v149, v171 dst_sel:WORD_1 dst_unused:UNUSED_PRESERVE src0_sel:DWORD// 000000003EB8: 7F2A14F9 000615AB
	v_cvt_f16_f32_e32 v150, v172                               // 000000003EC0: 7F2C15AC
	v_cvt_f16_f32_sdwa v150, v173 dst_sel:WORD_1 dst_unused:UNUSED_PRESERVE src0_sel:DWORD// 000000003EC4: 7F2C14F9 000615AD
	v_cvt_f16_f32_e32 v151, v174                               // 000000003ECC: 7F2E15AE
	v_cvt_f16_f32_sdwa v151, v175 dst_sel:WORD_1 dst_unused:UNUSED_PRESERVE src0_sel:DWORD// 000000003ED0: 7F2E14F9 000615AF
	v_cvt_f16_f32_e32 v152, v176                               // 000000003ED8: 7F3015B0
	v_cvt_f16_f32_sdwa v152, v177 dst_sel:WORD_1 dst_unused:UNUSED_PRESERVE src0_sel:DWORD// 000000003EDC: 7F3014F9 000615B1
	v_cvt_f16_f32_e32 v153, v178                               // 000000003EE4: 7F3215B2
	v_cvt_f16_f32_sdwa v153, v179 dst_sel:WORD_1 dst_unused:UNUSED_PRESERVE src0_sel:DWORD// 000000003EE8: 7F3214F9 000615B3
	v_cvt_f16_f32_e32 v154, v180                               // 000000003EF0: 7F3415B4
	v_cvt_f16_f32_sdwa v154, v181 dst_sel:WORD_1 dst_unused:UNUSED_PRESERVE src0_sel:DWORD// 000000003EF4: 7F3414F9 000615B5
	v_cvt_f16_f32_e32 v155, v182                               // 000000003EFC: 7F3615B6
	v_cvt_f16_f32_sdwa v155, v183 dst_sel:WORD_1 dst_unused:UNUSED_PRESERVE src0_sel:DWORD// 000000003F00: 7F3614F9 000615B7
	v_cvt_f16_f32_e32 v156, v184                               // 000000003F08: 7F3815B8
	v_cvt_f16_f32_sdwa v156, v185 dst_sel:WORD_1 dst_unused:UNUSED_PRESERVE src0_sel:DWORD// 000000003F0C: 7F3814F9 000615B9
	v_cvt_f16_f32_e32 v157, v186                               // 000000003F14: 7F3A15BA
	v_cvt_f16_f32_sdwa v157, v187 dst_sel:WORD_1 dst_unused:UNUSED_PRESERVE src0_sel:DWORD// 000000003F18: 7F3A14F9 000615BB
	v_cvt_f16_f32_e32 v158, v188                               // 000000003F20: 7F3C15BC
	v_cvt_f16_f32_sdwa v158, v189 dst_sel:WORD_1 dst_unused:UNUSED_PRESERVE src0_sel:DWORD// 000000003F24: 7F3C14F9 000615BD
	v_cvt_f16_f32_e32 v159, v190                               // 000000003F2C: 7F3E15BE
	v_cvt_f16_f32_sdwa v159, v191 dst_sel:WORD_1 dst_unused:UNUSED_PRESERVE src0_sel:DWORD// 000000003F30: 7F3E14F9 000615BF
	v_lshlrev_b32_e32 v54, 3, v0                               // 000000003F38: 246C0083
	s_mul_i32 s60, 0x200, s7                                   // 000000003F3C: 923C07FF 00000200
	v_add_u32_e64 v54, v54, s60                                // 000000003F44: D1340036 00007936
	ds_write_b64 v54, v[128:129] offset:16640                  // 000000003F4C: D89A4100 00008036
	ds_write_b64 v54, v[130:131] offset:33024                  // 000000003F54: D89A8100 00008236
	ds_write_b64 v54, v[132:133] offset:18688                  // 000000003F5C: D89A4900 00008436
	ds_write_b64 v54, v[134:135] offset:35072                  // 000000003F64: D89A8900 00008636
	ds_write_b64 v54, v[136:137] offset:20736                  // 000000003F6C: D89A5100 00008836
	ds_write_b64 v54, v[138:139] offset:37120                  // 000000003F74: D89A9100 00008A36
	ds_write_b64 v54, v[140:141] offset:22784                  // 000000003F7C: D89A5900 00008C36
	ds_write_b64 v54, v[142:143] offset:39168                  // 000000003F84: D89A9900 00008E36
	ds_write_b64 v54, v[144:145] offset:24832                  // 000000003F8C: D89A6100 00009036
	ds_write_b64 v54, v[146:147] offset:41216                  // 000000003F94: D89AA100 00009236
	ds_write_b64 v54, v[148:149] offset:26880                  // 000000003F9C: D89A6900 00009436
	ds_write_b64 v54, v[150:151] offset:43264                  // 000000003FA4: D89AA900 00009636
	ds_write_b64 v54, v[152:153] offset:28928                  // 000000003FAC: D89A7100 00009836
	ds_write_b64 v54, v[154:155] offset:45312                  // 000000003FB4: D89AB100 00009A36
	ds_write_b64 v54, v[156:157] offset:30976                  // 000000003FBC: D89A7900 00009C36
	ds_write_b64 v54, v[158:159] offset:47360                  // 000000003FC4: D89AB900 00009E36
	s_waitcnt lgkmcnt(0)                                       // 000000003FCC: BF8CC07F
	s_barrier                                                  // 000000003FD0: BF8A0000
	v_lshrrev_b32_e32 v54, 4, v0                               // 000000003FD4: 206C0084
	v_lshlrev_b32_e32 v55, 6, v54                              // 000000003FD8: 246E6C86
	v_and_b32_e32 v54, 15, v0                                  // 000000003FDC: 266C008F
	v_lshlrev_b32_e32 v54, 1, v54                              // 000000003FE0: 246C6C81
	v_add_u32_e32 v55, v54, v55                                // 000000003FE4: 686E6F36
	v_lshlrev_b32_e32 v54, 2, v55                              // 000000003FE8: 246C6E82
	ds_read_b64 v[128:129], v54 offset:16640                   // 000000003FEC: D8EC4100 80000036
	ds_read_b64 v[130:131], v54 offset:16768                   // 000000003FF4: D8EC4180 82000036
	ds_read_b64 v[132:133], v54 offset:17664                   // 000000003FFC: D8EC4500 84000036
	ds_read_b64 v[134:135], v54 offset:17792                   // 000000004004: D8EC4580 86000036
	ds_read_b64 v[136:137], v54 offset:18688                   // 00000000400C: D8EC4900 88000036
	ds_read_b64 v[138:139], v54 offset:18816                   // 000000004014: D8EC4980 8A000036
	ds_read_b64 v[140:141], v54 offset:19712                   // 00000000401C: D8EC4D00 8C000036
	ds_read_b64 v[142:143], v54 offset:19840                   // 000000004024: D8EC4D80 8E000036
	ds_read_b64 v[144:145], v54 offset:20736                   // 00000000402C: D8EC5100 90000036
	ds_read_b64 v[146:147], v54 offset:20864                   // 000000004034: D8EC5180 92000036
	ds_read_b64 v[148:149], v54 offset:21760                   // 00000000403C: D8EC5500 94000036
	ds_read_b64 v[150:151], v54 offset:21888                   // 000000004044: D8EC5580 96000036
	ds_read_b64 v[152:153], v54 offset:22784                   // 00000000404C: D8EC5900 98000036
	ds_read_b64 v[154:155], v54 offset:22912                   // 000000004054: D8EC5980 9A000036
	ds_read_b64 v[156:157], v54 offset:23808                   // 00000000405C: D8EC5D00 9C000036
	ds_read_b64 v[158:159], v54 offset:23936                   // 000000004064: D8EC5D80 9E000036
	ds_read_b64 v[160:161], v54 offset:24832                   // 00000000406C: D8EC6100 A0000036
	ds_read_b64 v[162:163], v54 offset:24960                   // 000000004074: D8EC6180 A2000036
	ds_read_b64 v[164:165], v54 offset:25856                   // 00000000407C: D8EC6500 A4000036
	ds_read_b64 v[166:167], v54 offset:25984                   // 000000004084: D8EC6580 A6000036
	ds_read_b64 v[168:169], v54 offset:26880                   // 00000000408C: D8EC6900 A8000036
	ds_read_b64 v[170:171], v54 offset:27008                   // 000000004094: D8EC6980 AA000036
	ds_read_b64 v[172:173], v54 offset:27904                   // 00000000409C: D8EC6D00 AC000036
	ds_read_b64 v[174:175], v54 offset:28032                   // 0000000040A4: D8EC6D80 AE000036
	ds_read_b64 v[176:177], v54 offset:28928                   // 0000000040AC: D8EC7100 B0000036
	ds_read_b64 v[178:179], v54 offset:29056                   // 0000000040B4: D8EC7180 B2000036
	ds_read_b64 v[180:181], v54 offset:29952                   // 0000000040BC: D8EC7500 B4000036
	ds_read_b64 v[182:183], v54 offset:30080                   // 0000000040C4: D8EC7580 B6000036
	ds_read_b64 v[184:185], v54 offset:30976                   // 0000000040CC: D8EC7900 B8000036
	ds_read_b64 v[186:187], v54 offset:31104                   // 0000000040D4: D8EC7980 BA000036
	ds_read_b64 v[188:189], v54 offset:32000                   // 0000000040DC: D8EC7D00 BC000036
	ds_read_b64 v[190:191], v54 offset:32128                   // 0000000040E4: D8EC7D80 BE000036
	ds_read_b64 v[192:193], v54 offset:33024                   // 0000000040EC: D8EC8100 C0000036
	ds_read_b64 v[194:195], v54 offset:33152                   // 0000000040F4: D8EC8180 C2000036
	ds_read_b64 v[196:197], v54 offset:34048                   // 0000000040FC: D8EC8500 C4000036
	ds_read_b64 v[198:199], v54 offset:34176                   // 000000004104: D8EC8580 C6000036
	ds_read_b64 v[200:201], v54 offset:35072                   // 00000000410C: D8EC8900 C8000036
	ds_read_b64 v[202:203], v54 offset:35200                   // 000000004114: D8EC8980 CA000036
	ds_read_b64 v[204:205], v54 offset:36096                   // 00000000411C: D8EC8D00 CC000036
	ds_read_b64 v[206:207], v54 offset:36224                   // 000000004124: D8EC8D80 CE000036
	ds_read_b64 v[208:209], v54 offset:37120                   // 00000000412C: D8EC9100 D0000036
	ds_read_b64 v[210:211], v54 offset:37248                   // 000000004134: D8EC9180 D2000036
	ds_read_b64 v[212:213], v54 offset:38144                   // 00000000413C: D8EC9500 D4000036
	ds_read_b64 v[214:215], v54 offset:38272                   // 000000004144: D8EC9580 D6000036
	ds_read_b64 v[216:217], v54 offset:39168                   // 00000000414C: D8EC9900 D8000036
	ds_read_b64 v[218:219], v54 offset:39296                   // 000000004154: D8EC9980 DA000036
	ds_read_b64 v[220:221], v54 offset:40192                   // 00000000415C: D8EC9D00 DC000036
	ds_read_b64 v[222:223], v54 offset:40320                   // 000000004164: D8EC9D80 DE000036
	ds_read_b64 v[224:225], v54 offset:41216                   // 00000000416C: D8ECA100 E0000036
	ds_read_b64 v[226:227], v54 offset:41344                   // 000000004174: D8ECA180 E2000036
	ds_read_b64 v[228:229], v54 offset:42240                   // 00000000417C: D8ECA500 E4000036
	ds_read_b64 v[230:231], v54 offset:42368                   // 000000004184: D8ECA580 E6000036
	ds_read_b64 v[232:233], v54 offset:43264                   // 00000000418C: D8ECA900 E8000036
	ds_read_b64 v[234:235], v54 offset:43392                   // 000000004194: D8ECA980 EA000036
	ds_read_b64 v[236:237], v54 offset:44288                   // 00000000419C: D8ECAD00 EC000036
	ds_read_b64 v[238:239], v54 offset:44416                   // 0000000041A4: D8ECAD80 EE000036
	ds_read_b64 v[240:241], v54 offset:45312                   // 0000000041AC: D8ECB100 F0000036
	ds_read_b64 v[242:243], v54 offset:45440                   // 0000000041B4: D8ECB180 F2000036
	ds_read_b64 v[244:245], v54 offset:46336                   // 0000000041BC: D8ECB500 F4000036
	ds_read_b64 v[246:247], v54 offset:46464                   // 0000000041C4: D8ECB580 F6000036
	ds_read_b64 v[248:249], v54 offset:47360                   // 0000000041CC: D8ECB900 F8000036
	ds_read_b64 v[250:251], v54 offset:47488                   // 0000000041D4: D8ECB980 FA000036
	ds_read_b64 v[252:253], v54 offset:48384                   // 0000000041DC: D8ECBD00 FC000036
	ds_read_b64 v[254:255], v54 offset:48512                   // 0000000041E4: D8ECBD80 FE000036
	s_add_u32 s12, s56, s12                                    // 0000000041EC: 800C0C38
	s_addc_u32 s13, 0, s13                                     // 0000000041F0: 820D0D80
	v_mov_b32_e32 v64, 0                                       // 0000000041F4: 7E800280
	v_mov_b32_e32 v80, 0                                       // 0000000041F8: 7EA00280
	v_mov_b32_e32 v65, 0                                       // 0000000041FC: 7E820280
	v_mov_b32_e32 v81, 0                                       // 000000004200: 7EA20280
	v_mov_b32_e32 v66, 0                                       // 000000004204: 7E840280
	v_mov_b32_e32 v82, 0                                       // 000000004208: 7EA40280
	v_mov_b32_e32 v67, 0                                       // 00000000420C: 7E860280
	v_mov_b32_e32 v83, 0                                       // 000000004210: 7EA60280
	v_mov_b32_e32 v68, 0                                       // 000000004214: 7E880280
	v_mov_b32_e32 v84, 0                                       // 000000004218: 7EA80280
	v_mov_b32_e32 v69, 0                                       // 00000000421C: 7E8A0280
	v_mov_b32_e32 v85, 0                                       // 000000004220: 7EAA0280
	v_mov_b32_e32 v70, 0                                       // 000000004224: 7E8C0280
	v_mov_b32_e32 v86, 0                                       // 000000004228: 7EAC0280
	v_mov_b32_e32 v71, 0                                       // 00000000422C: 7E8E0280
	v_mov_b32_e32 v87, 0                                       // 000000004230: 7EAE0280
	ds_write_b64 v3, v[64:65] offset:16640                     // 000000004234: D89A4100 00004003
	ds_write_b64 v3, v[66:67] offset:20992                     // 00000000423C: D89A5200 00004203
	ds_write_b64 v3, v[68:69] offset:18816                     // 000000004244: D89A4980 00004403
	ds_write_b64 v3, v[70:71] offset:23168                     // 00000000424C: D89A5A80 00004603
	s_mov_b32 s80, 0                                           // 000000004254: BED00080
	s_waitcnt vmcnt(24)                                        // 000000004258: BF8C4F78

000000000000425c <label_0AB9>:
	s_waitcnt vmcnt(30) lgkmcnt(0)                             // 00000000425C: BF8C407E
	s_barrier                                                  // 000000004260: BF8A0000
	v_mfma_f32_16x16x16_f16 v[64:67], a[0:1], v[128:129], 0    // 000000004264: D3CD0040 0A030100
	ds_read_b32 v10, v4 offset:16640                           // 00000000426C: D86C4100 0A000004
	ds_read_b32 v11, v4 offset:16672                           // 000000004274: D86C4120 0B000004
	v_mfma_f32_16x16x16_f16 v[64:67], a[2:3], v[130:131], v[64:67]// 00000000427C: D3CD0040 0D030502
	buffer_load_dwordx4 a[128:131], v18, s[12:15], 0 offen     // 000000004284: E05C1000 80838012
	v_mfma_f32_16x16x16_f16 v[64:67], a[4:5], v[132:133], v[64:67]// 00000000428C: D3CD0040 0D030904
	ds_read_b32 v12, v4 offset:16704                           // 000000004294: D86C4140 0C000004
	ds_read_b32 v13, v4 offset:16736                           // 00000000429C: D86C4160 0D000004
	v_mfma_f32_16x16x16_f16 v[64:67], a[6:7], v[134:135], v[64:67]// 0000000042A4: D3CD0040 0D030D06
	v_mfma_f32_16x16x16_f16 v[64:67], a[8:9], v[136:137], v[64:67]// 0000000042AC: D3CD0040 0D031108
	ds_read_b32 v14, v4 offset:20992                           // 0000000042B4: D86C5200 0E000004
	ds_read_b32 v15, v4 offset:21024                           // 0000000042BC: D86C5220 0F000004
	v_mfma_f32_16x16x16_f16 v[64:67], a[10:11], v[138:139], v[64:67]// 0000000042C4: D3CD0040 0D03150A
	buffer_load_dwordx4 a[132:135], v18, s[12:15], 0 offen offset:1024// 0000000042CC: E05C1400 80838412
	v_mfma_f32_16x16x16_f16 v[64:67], a[12:13], v[140:141], v[64:67]// 0000000042D4: D3CD0040 0D03190C
	ds_read_b32 v16, v4 offset:21056                           // 0000000042DC: D86C5240 10000004
	ds_read_b32 v17, v4 offset:21088                           // 0000000042E4: D86C5260 11000004
	v_mfma_f32_16x16x16_f16 v[64:67], a[14:15], v[142:143], v[64:67]// 0000000042EC: D3CD0040 0D031D0E
	v_mfma_f32_16x16x16_f16 v[68:71], a[0:1], v[192:193], 0    // 0000000042F4: D3CD0044 0A038100
	v_mfma_f32_16x16x16_f16 v[68:71], a[2:3], v[194:195], v[68:71]// 0000000042FC: D3CD0044 0D138502
	buffer_load_dwordx4 a[136:139], v18, s[12:15], 0 offen offset:2048// 000000004304: E05C1800 80838812
	v_mfma_f32_16x16x16_f16 v[68:71], a[4:5], v[196:197], v[68:71]// 00000000430C: D3CD0044 0D138904
	v_mfma_f32_16x16x16_f16 v[68:71], a[6:7], v[198:199], v[68:71]// 000000004314: D3CD0044 0D138D06
	v_mfma_f32_16x16x16_f16 v[68:71], a[8:9], v[200:201], v[68:71]// 00000000431C: D3CD0044 0D139108
	v_mfma_f32_16x16x16_f16 v[68:71], a[10:11], v[202:203], v[68:71]// 000000004324: D3CD0044 0D13950A
	buffer_load_dwordx4 a[140:143], v18, s[12:15], 0 offen offset:3072// 00000000432C: E05C1C00 80838C12
	v_mfma_f32_16x16x16_f16 v[68:71], a[12:13], v[204:205], v[68:71]// 000000004334: D3CD0044 0D13990C
	v_mfma_f32_16x16x16_f16 v[68:71], a[14:15], v[206:207], v[68:71]// 00000000433C: D3CD0044 0D139D0E
	s_waitcnt lgkmcnt(0)                                       // 000000004344: BF8CC07F
	s_mov_b64 exec, s[16:17]                                   // 000000004348: BEFE0110
	global_atomic_pk_add_f16 v34, v10, s[8:9]                  // 00000000434C: DD388000 00080A22
	s_mov_b64 exec, s[38:39]                                   // 000000004354: BEFE0126
	v_mfma_f32_16x16x16_f16 v[72:75], a[16:17], v[128:129], 0  // 000000004358: D3CD0048 0A030110
	v_mfma_f32_16x16x16_f16 v[72:75], a[18:19], v[130:131], v[72:75]// 000000004360: D3CD0048 0D230512
	buffer_load_dwordx4 a[144:147], v19, s[12:15], 0 offen     // 000000004368: E05C1000 80839013
	v_mfma_f32_16x16x16_f16 v[72:75], a[20:21], v[132:133], v[72:75]// 000000004370: D3CD0048 0D230914
	v_mfma_f32_16x16x16_f16 v[72:75], a[22:23], v[134:135], v[72:75]// 000000004378: D3CD0048 0D230D16
	v_mfma_f32_16x16x16_f16 v[72:75], a[24:25], v[136:137], v[72:75]// 000000004380: D3CD0048 0D231118
	v_mfma_f32_16x16x16_f16 v[72:75], a[26:27], v[138:139], v[72:75]// 000000004388: D3CD0048 0D23151A
	buffer_load_dwordx4 a[148:151], v19, s[12:15], 0 offen offset:1024// 000000004390: E05C1400 80839413
	v_mfma_f32_16x16x16_f16 v[72:75], a[28:29], v[140:141], v[72:75]// 000000004398: D3CD0048 0D23191C
	v_mfma_f32_16x16x16_f16 v[72:75], a[30:31], v[142:143], v[72:75]// 0000000043A0: D3CD0048 0D231D1E
	v_mfma_f32_16x16x16_f16 v[76:79], a[16:17], v[192:193], 0  // 0000000043A8: D3CD004C 0A038110
	v_mfma_f32_16x16x16_f16 v[76:79], a[18:19], v[194:195], v[76:79]// 0000000043B0: D3CD004C 0D338512
	buffer_load_dwordx4 a[152:155], v19, s[12:15], 0 offen offset:2048// 0000000043B8: E05C1800 80839813
	v_mfma_f32_16x16x16_f16 v[76:79], a[20:21], v[196:197], v[76:79]// 0000000043C0: D3CD004C 0D338914
	v_mfma_f32_16x16x16_f16 v[76:79], a[22:23], v[198:199], v[76:79]// 0000000043C8: D3CD004C 0D338D16
	v_mfma_f32_16x16x16_f16 v[76:79], a[24:25], v[200:201], v[76:79]// 0000000043D0: D3CD004C 0D339118
	v_mfma_f32_16x16x16_f16 v[76:79], a[26:27], v[202:203], v[76:79]// 0000000043D8: D3CD004C 0D33951A
	buffer_load_dwordx4 a[156:159], v19, s[12:15], 0 offen offset:3072// 0000000043E0: E05C1C00 80839C13
	v_mfma_f32_16x16x16_f16 v[76:79], a[28:29], v[204:205], v[76:79]// 0000000043E8: D3CD004C 0D33991C
	v_mfma_f32_16x16x16_f16 v[76:79], a[30:31], v[206:207], v[76:79]// 0000000043F0: D3CD004C 0D339D1E
	s_mov_b64 exec, s[18:19]                                   // 0000000043F8: BEFE0112
	global_atomic_pk_add_f16 v36, v11, s[8:9]                  // 0000000043FC: DD388000 00080B24
	s_mov_b64 exec, s[38:39]                                   // 000000004404: BEFE0126
	s_waitcnt vmcnt(30)                                        // 000000004408: BF8C4F7E
	v_mfma_f32_16x16x16_f16 v[64:67], a[32:33], v[144:145], v[64:67]// 00000000440C: D3CD0040 0D032120
	ds_write_b64 v3, v[80:81] offset:25344                     // 000000004414: D89A6300 00005003
	v_mfma_f32_16x16x16_f16 v[64:67], a[34:35], v[146:147], v[64:67]// 00000000441C: D3CD0040 0D032522
	buffer_load_dwordx4 a[160:163], v20, s[12:15], 0 offen     // 000000004424: E05C1000 8083A014
	v_mfma_f32_16x16x16_f16 v[64:67], a[36:37], v[148:149], v[64:67]// 00000000442C: D3CD0040 0D032924
	ds_write_b64 v3, v[82:83] offset:29696                     // 000000004434: D89A7400 00005203
	v_mfma_f32_16x16x16_f16 v[64:67], a[38:39], v[150:151], v[64:67]// 00000000443C: D3CD0040 0D032D26
	v_mfma_f32_16x16x16_f16 v[64:67], a[40:41], v[152:153], v[64:67]// 000000004444: D3CD0040 0D033128
	ds_write_b64 v3, v[84:85] offset:27520                     // 00000000444C: D89A6B80 00005403
	v_mfma_f32_16x16x16_f16 v[64:67], a[42:43], v[154:155], v[64:67]// 000000004454: D3CD0040 0D03352A
	buffer_load_dwordx4 a[164:167], v20, s[12:15], 0 offen offset:1024// 00000000445C: E05C1400 8083A414
	v_mfma_f32_16x16x16_f16 v[64:67], a[44:45], v[156:157], v[64:67]// 000000004464: D3CD0040 0D03392C
	ds_write_b64 v3, v[86:87] offset:31872                     // 00000000446C: D89A7C80 00005603
	v_mfma_f32_16x16x16_f16 v[64:67], a[46:47], v[158:159], v[64:67]// 000000004474: D3CD0040 0D033D2E
	v_mfma_f32_16x16x16_f16 v[68:71], a[32:33], v[208:209], v[68:71]// 00000000447C: D3CD0044 0D13A120
	v_mfma_f32_16x16x16_f16 v[68:71], a[34:35], v[210:211], v[68:71]// 000000004484: D3CD0044 0D13A522
	buffer_load_dwordx4 a[168:171], v20, s[12:15], 0 offen offset:2048// 00000000448C: E05C1800 8083A814
	v_mfma_f32_16x16x16_f16 v[68:71], a[36:37], v[212:213], v[68:71]// 000000004494: D3CD0044 0D13A924
	v_mfma_f32_16x16x16_f16 v[68:71], a[38:39], v[214:215], v[68:71]// 00000000449C: D3CD0044 0D13AD26
	v_mfma_f32_16x16x16_f16 v[68:71], a[40:41], v[216:217], v[68:71]// 0000000044A4: D3CD0044 0D13B128
	v_mfma_f32_16x16x16_f16 v[68:71], a[42:43], v[218:219], v[68:71]// 0000000044AC: D3CD0044 0D13B52A
	buffer_load_dwordx4 a[172:175], v20, s[12:15], 0 offen offset:3072// 0000000044B4: E05C1C00 8083AC14
	v_mfma_f32_16x16x16_f16 v[68:71], a[44:45], v[220:221], v[68:71]// 0000000044BC: D3CD0044 0D13B92C
	v_mfma_f32_16x16x16_f16 v[68:71], a[46:47], v[222:223], v[68:71]// 0000000044C4: D3CD0044 0D13BD2E
	s_mov_b64 exec, s[20:21]                                   // 0000000044CC: BEFE0114
	global_atomic_pk_add_f16 v38, v12, s[8:9]                  // 0000000044D0: DD388000 00080C26
	s_mov_b64 exec, s[38:39]                                   // 0000000044D8: BEFE0126
	v_mfma_f32_16x16x16_f16 v[72:75], a[48:49], v[144:145], v[72:75]// 0000000044DC: D3CD0048 0D232130
	v_mfma_f32_16x16x16_f16 v[72:75], a[50:51], v[146:147], v[72:75]// 0000000044E4: D3CD0048 0D232532
	buffer_load_dwordx4 a[176:179], v21, s[12:15], 0 offen     // 0000000044EC: E05C1000 8083B015
	v_mfma_f32_16x16x16_f16 v[72:75], a[52:53], v[148:149], v[72:75]// 0000000044F4: D3CD0048 0D232934
	v_mfma_f32_16x16x16_f16 v[72:75], a[54:55], v[150:151], v[72:75]// 0000000044FC: D3CD0048 0D232D36
	v_mfma_f32_16x16x16_f16 v[72:75], a[56:57], v[152:153], v[72:75]// 000000004504: D3CD0048 0D233138
	v_mfma_f32_16x16x16_f16 v[72:75], a[58:59], v[154:155], v[72:75]// 00000000450C: D3CD0048 0D23353A
	buffer_load_dwordx4 a[180:183], v21, s[12:15], 0 offen offset:1024// 000000004514: E05C1400 8083B415
	v_mfma_f32_16x16x16_f16 v[72:75], a[60:61], v[156:157], v[72:75]// 00000000451C: D3CD0048 0D23393C
	v_mfma_f32_16x16x16_f16 v[72:75], a[62:63], v[158:159], v[72:75]// 000000004524: D3CD0048 0D233D3E
	v_mfma_f32_16x16x16_f16 v[76:79], a[48:49], v[208:209], v[76:79]// 00000000452C: D3CD004C 0D33A130
	v_mfma_f32_16x16x16_f16 v[76:79], a[50:51], v[210:211], v[76:79]// 000000004534: D3CD004C 0D33A532
	buffer_load_dwordx4 a[184:187], v21, s[12:15], 0 offen offset:2048// 00000000453C: E05C1800 8083B815
	v_mfma_f32_16x16x16_f16 v[76:79], a[52:53], v[212:213], v[76:79]// 000000004544: D3CD004C 0D33A934
	v_mfma_f32_16x16x16_f16 v[76:79], a[54:55], v[214:215], v[76:79]// 00000000454C: D3CD004C 0D33AD36
	v_mfma_f32_16x16x16_f16 v[76:79], a[56:57], v[216:217], v[76:79]// 000000004554: D3CD004C 0D33B138
	v_mfma_f32_16x16x16_f16 v[76:79], a[58:59], v[218:219], v[76:79]// 00000000455C: D3CD004C 0D33B53A
	buffer_load_dwordx4 a[188:191], v21, s[12:15], 0 offen offset:3072// 000000004564: E05C1C00 8083BC15
	v_mfma_f32_16x16x16_f16 v[76:79], a[60:61], v[220:221], v[76:79]// 00000000456C: D3CD004C 0D33B93C
	v_mfma_f32_16x16x16_f16 v[76:79], a[62:63], v[222:223], v[76:79]// 000000004574: D3CD004C 0D33BD3E
	s_mov_b64 exec, s[22:23]                                   // 00000000457C: BEFE0116
	global_atomic_pk_add_f16 v40, v13, s[8:9]                  // 000000004580: DD388000 00080D28
	s_mov_b64 exec, s[38:39]                                   // 000000004588: BEFE0126
	s_waitcnt vmcnt(30)                                        // 00000000458C: BF8C4F7E
	v_mfma_f32_16x16x16_f16 v[64:67], a[64:65], v[160:161], v[64:67]// 000000004590: D3CD0040 0D034140
	v_mfma_f32_16x16x16_f16 v[64:67], a[66:67], v[162:163], v[64:67]// 000000004598: D3CD0040 0D034542
	buffer_load_dwordx4 a[192:195], v22, s[12:15], 0 offen     // 0000000045A0: E05C1000 8083C016
	v_mfma_f32_16x16x16_f16 v[64:67], a[68:69], v[164:165], v[64:67]// 0000000045A8: D3CD0040 0D034944
	s_add_u32 s60, 0x100, s80                                  // 0000000045B0: 803C50FF 00000100
	s_cmp_lt_u32 s60, s81                                      // 0000000045B8: BF0A513C
	s_cselect_b32 s56, s56, 0                                  // 0000000045BC: 85388038
	v_mfma_f32_16x16x16_f16 v[64:67], a[70:71], v[166:167], v[64:67]// 0000000045C0: D3CD0040 0D034D46
	v_mfma_f32_16x16x16_f16 v[64:67], a[72:73], v[168:169], v[64:67]// 0000000045C8: D3CD0040 0D035148
	v_mfma_f32_16x16x16_f16 v[64:67], a[74:75], v[170:171], v[64:67]// 0000000045D0: D3CD0040 0D03554A
	buffer_load_dwordx4 a[196:199], v22, s[12:15], 0 offen offset:1024// 0000000045D8: E05C1400 8083C416
	v_mfma_f32_16x16x16_f16 v[64:67], a[76:77], v[172:173], v[64:67]// 0000000045E0: D3CD0040 0D03594C
	s_cmp_ge_u32 s80, 0x100                                    // 0000000045E8: BF09FF50 00000100
	s_cselect_b32 s59, 0x100, s59                              // 0000000045F0: 853B3BFF 00000100
	v_mfma_f32_16x16x16_f16 v[64:67], a[78:79], v[174:175], v[64:67]// 0000000045F8: D3CD0040 0D035D4E
	v_mfma_f32_16x16x16_f16 v[68:71], a[64:65], v[224:225], v[68:71]// 000000004600: D3CD0044 0D13C140
	v_mfma_f32_16x16x16_f16 v[68:71], a[66:67], v[226:227], v[68:71]// 000000004608: D3CD0044 0D13C542
	buffer_load_dwordx4 a[200:203], v22, s[12:15], 0 offen offset:2048// 000000004610: E05C1800 8083C816
	v_mfma_f32_16x16x16_f16 v[68:71], a[68:69], v[228:229], v[68:71]// 000000004618: D3CD0044 0D13C944
	s_add_u32 s16, s57, s16                                    // 000000004620: 80101039
	s_addc_u32 s17, 0, s17                                     // 000000004624: 82111180
	v_mfma_f32_16x16x16_f16 v[68:71], a[70:71], v[230:231], v[68:71]// 000000004628: D3CD0044 0D13CD46
	v_mfma_f32_16x16x16_f16 v[68:71], a[72:73], v[232:233], v[68:71]// 000000004630: D3CD0044 0D13D148
	v_mfma_f32_16x16x16_f16 v[68:71], a[74:75], v[234:235], v[68:71]// 000000004638: D3CD0044 0D13D54A
	buffer_load_dwordx4 a[204:207], v22, s[12:15], 0 offen offset:3072// 000000004640: E05C1C00 8083CC16
	v_mfma_f32_16x16x16_f16 v[68:71], a[76:77], v[236:237], v[68:71]// 000000004648: D3CD0044 0D13D94C
	v_mfma_f32_16x16x16_f16 v[68:71], a[78:79], v[238:239], v[68:71]// 000000004650: D3CD0044 0D13DD4E
	s_mov_b64 exec, s[24:25]                                   // 000000004658: BEFE0118
	global_atomic_pk_add_f16 v42, v14, s[8:9]                  // 00000000465C: DD388000 00080E2A
	s_mov_b64 exec, s[38:39]                                   // 000000004664: BEFE0126
	v_mfma_f32_16x16x16_f16 v[72:75], a[80:81], v[160:161], v[72:75]// 000000004668: D3CD0048 0D234150
	v_mfma_f32_16x16x16_f16 v[72:75], a[82:83], v[162:163], v[72:75]// 000000004670: D3CD0048 0D234552
	buffer_load_dwordx4 a[208:211], v23, s[12:15], 0 offen     // 000000004678: E05C1000 8083D017
	v_mfma_f32_16x16x16_f16 v[72:75], a[84:85], v[164:165], v[72:75]// 000000004680: D3CD0048 0D234954
	v_mfma_f32_16x16x16_f16 v[72:75], a[86:87], v[166:167], v[72:75]// 000000004688: D3CD0048 0D234D56
	v_mfma_f32_16x16x16_f16 v[72:75], a[88:89], v[168:169], v[72:75]// 000000004690: D3CD0048 0D235158
	v_mfma_f32_16x16x16_f16 v[72:75], a[90:91], v[170:171], v[72:75]// 000000004698: D3CD0048 0D23555A
	buffer_load_dwordx4 a[212:215], v23, s[12:15], 0 offen offset:1024// 0000000046A0: E05C1400 8083D417
	v_mfma_f32_16x16x16_f16 v[72:75], a[92:93], v[172:173], v[72:75]// 0000000046A8: D3CD0048 0D23595C
	v_mfma_f32_16x16x16_f16 v[72:75], a[94:95], v[174:175], v[72:75]// 0000000046B0: D3CD0048 0D235D5E
	v_mfma_f32_16x16x16_f16 v[76:79], a[80:81], v[224:225], v[76:79]// 0000000046B8: D3CD004C 0D33C150
	v_mfma_f32_16x16x16_f16 v[76:79], a[82:83], v[226:227], v[76:79]// 0000000046C0: D3CD004C 0D33C552
	buffer_load_dwordx4 a[216:219], v23, s[12:15], 0 offen offset:2048// 0000000046C8: E05C1800 8083D817
	v_mfma_f32_16x16x16_f16 v[76:79], a[84:85], v[228:229], v[76:79]// 0000000046D0: D3CD004C 0D33C954
	v_mfma_f32_16x16x16_f16 v[76:79], a[86:87], v[230:231], v[76:79]// 0000000046D8: D3CD004C 0D33CD56
	v_mfma_f32_16x16x16_f16 v[76:79], a[88:89], v[232:233], v[76:79]// 0000000046E0: D3CD004C 0D33D158
	v_mfma_f32_16x16x16_f16 v[76:79], a[90:91], v[234:235], v[76:79]// 0000000046E8: D3CD004C 0D33D55A
	buffer_load_dwordx4 a[220:223], v23, s[12:15], 0 offen offset:3072// 0000000046F0: E05C1C00 8083DC17
	v_mfma_f32_16x16x16_f16 v[76:79], a[92:93], v[236:237], v[76:79]// 0000000046F8: D3CD004C 0D33D95C
	v_mfma_f32_16x16x16_f16 v[76:79], a[94:95], v[238:239], v[76:79]// 000000004700: D3CD004C 0D33DD5E
	s_mov_b64 exec, s[26:27]                                   // 000000004708: BEFE011A
	global_atomic_pk_add_f16 v44, v15, s[8:9]                  // 00000000470C: DD388000 00080F2C
	s_mov_b64 exec, s[38:39]                                   // 000000004714: BEFE0126
	s_waitcnt vmcnt(30)                                        // 000000004718: BF8C4F7E
	v_mfma_f32_16x16x16_f16 v[64:67], a[96:97], v[176:177], v[64:67]// 00000000471C: D3CD0040 0D036160
	v_mfma_f32_16x16x16_f16 v[64:67], a[98:99], v[178:179], v[64:67]// 000000004724: D3CD0040 0D036562
	buffer_load_dwordx4 a[224:227], v24, s[12:15], 0 offen     // 00000000472C: E05C1000 8083E018
	v_mfma_f32_16x16x16_f16 v[64:67], a[100:101], v[180:181], v[64:67]// 000000004734: D3CD0040 0D036964
	v_mfma_f32_16x16x16_f16 v[64:67], a[102:103], v[182:183], v[64:67]// 00000000473C: D3CD0040 0D036D66
	v_mfma_f32_16x16x16_f16 v[64:67], a[104:105], v[184:185], v[64:67]// 000000004744: D3CD0040 0D037168
	v_mfma_f32_16x16x16_f16 v[64:67], a[106:107], v[186:187], v[64:67]// 00000000474C: D3CD0040 0D03756A
	buffer_load_dwordx4 a[228:231], v24, s[12:15], 0 offen offset:1024// 000000004754: E05C1400 8083E418
	v_mfma_f32_16x16x16_f16 v[64:67], a[108:109], v[188:189], v[64:67]// 00000000475C: D3CD0040 0D03796C
	v_mfma_f32_16x16x16_f16 v[64:67], a[110:111], v[190:191], v[64:67]// 000000004764: D3CD0040 0D037D6E
	v_mfma_f32_16x16x16_f16 v[68:71], a[96:97], v[240:241], v[68:71]// 00000000476C: D3CD0044 0D13E160
	v_mfma_f32_16x16x16_f16 v[68:71], a[98:99], v[242:243], v[68:71]// 000000004774: D3CD0044 0D13E562
	buffer_load_dwordx4 a[232:235], v24, s[12:15], 0 offen offset:2048// 00000000477C: E05C1800 8083E818
	v_mfma_f32_16x16x16_f16 v[68:71], a[100:101], v[244:245], v[68:71]// 000000004784: D3CD0044 0D13E964
	v_mfma_f32_16x16x16_f16 v[68:71], a[102:103], v[246:247], v[68:71]// 00000000478C: D3CD0044 0D13ED66
	v_mfma_f32_16x16x16_f16 v[68:71], a[104:105], v[248:249], v[68:71]// 000000004794: D3CD0044 0D13F168
	v_mfma_f32_16x16x16_f16 v[68:71], a[106:107], v[250:251], v[68:71]// 00000000479C: D3CD0044 0D13F56A
	buffer_load_dwordx4 a[236:239], v24, s[12:15], 0 offen offset:3072// 0000000047A4: E05C1C00 8083EC18
	v_mfma_f32_16x16x16_f16 v[68:71], a[108:109], v[252:253], v[68:71]// 0000000047AC: D3CD0044 0D13F96C
	v_mfma_f32_16x16x16_f16 v[68:71], a[110:111], v[254:255], v[68:71]// 0000000047B4: D3CD0044 0D13FD6E
	s_mov_b64 exec, s[28:29]                                   // 0000000047BC: BEFE011C
	global_atomic_pk_add_f16 v46, v16, s[8:9]                  // 0000000047C0: DD388000 0008102E
	s_mov_b64 exec, s[38:39]                                   // 0000000047C8: BEFE0126
	v_mfma_f32_16x16x16_f16 v[72:75], a[112:113], v[176:177], v[72:75]// 0000000047CC: D3CD0048 0D236170
	v_mfma_f32_16x16x16_f16 v[72:75], a[114:115], v[178:179], v[72:75]// 0000000047D4: D3CD0048 0D236572
	buffer_load_dwordx4 a[240:243], v25, s[12:15], 0 offen     // 0000000047DC: E05C1000 8083F019
	v_mfma_f32_16x16x16_f16 v[72:75], a[116:117], v[180:181], v[72:75]// 0000000047E4: D3CD0048 0D236974
	v_mfma_f32_16x16x16_f16 v[72:75], a[118:119], v[182:183], v[72:75]// 0000000047EC: D3CD0048 0D236D76
	v_mfma_f32_16x16x16_f16 v[72:75], a[120:121], v[184:185], v[72:75]// 0000000047F4: D3CD0048 0D237178
	v_mfma_f32_16x16x16_f16 v[72:75], a[122:123], v[186:187], v[72:75]// 0000000047FC: D3CD0048 0D23757A
	buffer_load_dwordx4 a[244:247], v25, s[12:15], 0 offen offset:1024// 000000004804: E05C1400 8083F419
	v_mfma_f32_16x16x16_f16 v[72:75], a[124:125], v[188:189], v[72:75]// 00000000480C: D3CD0048 0D23797C
	v_mfma_f32_16x16x16_f16 v[72:75], a[126:127], v[190:191], v[72:75]// 000000004814: D3CD0048 0D237D7E
	v_mfma_f32_16x16x16_f16 v[76:79], a[112:113], v[240:241], v[76:79]// 00000000481C: D3CD004C 0D33E170
	v_mfma_f32_16x16x16_f16 v[76:79], a[114:115], v[242:243], v[76:79]// 000000004824: D3CD004C 0D33E572
	buffer_load_dwordx4 a[248:251], v25, s[12:15], 0 offen offset:2048// 00000000482C: E05C1800 8083F819
	v_mfma_f32_16x16x16_f16 v[76:79], a[116:117], v[244:245], v[76:79]// 000000004834: D3CD004C 0D33E974
	v_mfma_f32_16x16x16_f16 v[76:79], a[118:119], v[246:247], v[76:79]// 00000000483C: D3CD004C 0D33ED76
	v_mfma_f32_16x16x16_f16 v[76:79], a[120:121], v[248:249], v[76:79]// 000000004844: D3CD004C 0D33F178
	v_mfma_f32_16x16x16_f16 v[76:79], a[122:123], v[250:251], v[76:79]// 00000000484C: D3CD004C 0D33F57A
	buffer_load_dwordx4 a[252:255], v25, s[12:15], 0 offen offset:3072// 000000004854: E05C1C00 8083FC19
	v_mfma_f32_16x16x16_f16 v[76:79], a[124:125], v[252:253], v[76:79]// 00000000485C: D3CD004C 0D33F97C
	s_add_u32 s12, s56, s12                                    // 000000004864: 800C0C38
	s_addc_u32 s13, 0, s13                                     // 000000004868: 820D0D80
	v_mfma_f32_16x16x16_f16 v[76:79], a[126:127], v[254:255], v[76:79]// 00000000486C: D3CD004C 0D33FD7E
	s_mov_b64 exec, s[30:31]                                   // 000000004874: BEFE011E
	global_atomic_pk_add_f16 v48, v17, s[8:9]                  // 000000004878: DD388000 00081130
	s_mov_b64 exec, s[38:39]                                   // 000000004880: BEFE0126
	s_add_u32 s8, s59, s8                                      // 000000004884: 8008083B
	s_addc_u32 s9, 0, s9                                       // 000000004888: 82090980
	v_mul_f32_e32 v64, v8, v64                                 // 00000000488C: 0A808108
	v_mul_f32_e32 v65, v8, v65                                 // 000000004890: 0A828308
	v_mul_f32_e32 v66, v8, v66                                 // 000000004894: 0A848508
	v_mul_f32_e32 v67, v8, v67                                 // 000000004898: 0A868708
	v_mul_f32_e32 v68, v9, v68                                 // 00000000489C: 0A888909
	v_mul_f32_e32 v69, v9, v69                                 // 0000000048A0: 0A8A8B09
	v_mul_f32_e32 v70, v9, v70                                 // 0000000048A4: 0A8C8D09
	v_mul_f32_e32 v71, v9, v71                                 // 0000000048A8: 0A8E8F09
	v_mul_f32_e32 v72, v8, v72                                 // 0000000048AC: 0A909108
	v_mul_f32_e32 v73, v8, v73                                 // 0000000048B0: 0A929308
	v_mul_f32_e32 v74, v8, v74                                 // 0000000048B4: 0A949508
	v_mul_f32_e32 v75, v8, v75                                 // 0000000048B8: 0A969708
	v_mul_f32_e32 v76, v9, v76                                 // 0000000048BC: 0A989909
	v_mul_f32_e32 v77, v9, v77                                 // 0000000048C0: 0A9A9B09
	v_mul_f32_e32 v78, v9, v78                                 // 0000000048C4: 0A9C9D09
	v_mul_f32_e32 v79, v9, v79                                 // 0000000048C8: 0A9E9F09
	v_cvt_f16_f32_e32 v64, v64                                 // 0000000048CC: 7E801540
	v_cvt_f16_f32_sdwa v64, v65 dst_sel:WORD_1 dst_unused:UNUSED_PRESERVE src0_sel:DWORD// 0000000048D0: 7E8014F9 00061541
	v_cvt_f16_f32_e32 v65, v66                                 // 0000000048D8: 7E821542
	v_cvt_f16_f32_sdwa v65, v67 dst_sel:WORD_1 dst_unused:UNUSED_PRESERVE src0_sel:DWORD// 0000000048DC: 7E8214F9 00061543
	v_cvt_f16_f32_e32 v66, v68                                 // 0000000048E4: 7E841544
	v_cvt_f16_f32_sdwa v66, v69 dst_sel:WORD_1 dst_unused:UNUSED_PRESERVE src0_sel:DWORD// 0000000048E8: 7E8414F9 00061545
	v_cvt_f16_f32_e32 v67, v70                                 // 0000000048F0: 7E861546
	v_cvt_f16_f32_sdwa v67, v71 dst_sel:WORD_1 dst_unused:UNUSED_PRESERVE src0_sel:DWORD// 0000000048F4: 7E8614F9 00061547
	v_cvt_f16_f32_e32 v68, v72                                 // 0000000048FC: 7E881548
	v_cvt_f16_f32_sdwa v68, v73 dst_sel:WORD_1 dst_unused:UNUSED_PRESERVE src0_sel:DWORD// 000000004900: 7E8814F9 00061549
	v_cvt_f16_f32_e32 v69, v74                                 // 000000004908: 7E8A154A
	v_cvt_f16_f32_sdwa v69, v75 dst_sel:WORD_1 dst_unused:UNUSED_PRESERVE src0_sel:DWORD// 00000000490C: 7E8A14F9 0006154B
	v_cvt_f16_f32_e32 v70, v76                                 // 000000004914: 7E8C154C
	v_cvt_f16_f32_sdwa v70, v77 dst_sel:WORD_1 dst_unused:UNUSED_PRESERVE src0_sel:DWORD// 000000004918: 7E8C14F9 0006154D
	v_cvt_f16_f32_e32 v71, v78                                 // 000000004920: 7E8E154E
	v_cvt_f16_f32_sdwa v71, v79 dst_sel:WORD_1 dst_unused:UNUSED_PRESERVE src0_sel:DWORD// 000000004924: 7E8E14F9 0006154F
	s_addk_i32 s80, 0x80                                       // 00000000492C: B7500080
	s_cmp_lt_i32 s80, s81                                      // 000000004930: BF045150
	s_cbranch_scc0 label_0ED8                                  // 000000004934: BF8401B8
	s_waitcnt vmcnt(30) lgkmcnt(0)                             // 000000004938: BF8C407E
	s_barrier                                                  // 00000000493C: BF8A0000
	v_mfma_f32_16x16x16_f16 v[80:83], a[128:129], v[128:129], 0// 000000004940: D3CD0050 0A030180
	ds_read_b32 v10, v4 offset:25344                           // 000000004948: D86C6300 0A000004
	ds_read_b32 v11, v4 offset:25376                           // 000000004950: D86C6320 0B000004
	v_mfma_f32_16x16x16_f16 v[80:83], a[130:131], v[130:131], v[80:83]// 000000004958: D3CD0050 0D430582
	buffer_load_dwordx4 a[0:3], v18, s[12:15], 0 offen         // 000000004960: E05C1000 80830012
	v_mfma_f32_16x16x16_f16 v[80:83], a[132:133], v[132:133], v[80:83]// 000000004968: D3CD0050 0D430984
	ds_read_b32 v12, v4 offset:25408                           // 000000004970: D86C6340 0C000004
	ds_read_b32 v13, v4 offset:25440                           // 000000004978: D86C6360 0D000004
	v_mfma_f32_16x16x16_f16 v[80:83], a[134:135], v[134:135], v[80:83]// 000000004980: D3CD0050 0D430D86
	v_mfma_f32_16x16x16_f16 v[80:83], a[136:137], v[136:137], v[80:83]// 000000004988: D3CD0050 0D431188
	ds_read_b32 v14, v4 offset:29696                           // 000000004990: D86C7400 0E000004
	ds_read_b32 v15, v4 offset:29728                           // 000000004998: D86C7420 0F000004
	v_mfma_f32_16x16x16_f16 v[80:83], a[138:139], v[138:139], v[80:83]// 0000000049A0: D3CD0050 0D43158A
	buffer_load_dwordx4 a[4:7], v18, s[12:15], 0 offen offset:1024// 0000000049A8: E05C1400 80830412
	v_mfma_f32_16x16x16_f16 v[80:83], a[140:141], v[140:141], v[80:83]// 0000000049B0: D3CD0050 0D43198C
	ds_read_b32 v16, v4 offset:29760                           // 0000000049B8: D86C7440 10000004
	ds_read_b32 v17, v4 offset:29792                           // 0000000049C0: D86C7460 11000004
	v_mfma_f32_16x16x16_f16 v[80:83], a[142:143], v[142:143], v[80:83]// 0000000049C8: D3CD0050 0D431D8E
	v_mfma_f32_16x16x16_f16 v[84:87], a[128:129], v[192:193], 0// 0000000049D0: D3CD0054 0A038180
	v_mfma_f32_16x16x16_f16 v[84:87], a[130:131], v[194:195], v[84:87]// 0000000049D8: D3CD0054 0D538582
	buffer_load_dwordx4 a[8:11], v18, s[12:15], 0 offen offset:2048// 0000000049E0: E05C1800 80830812
	v_mfma_f32_16x16x16_f16 v[84:87], a[132:133], v[196:197], v[84:87]// 0000000049E8: D3CD0054 0D538984
	v_mfma_f32_16x16x16_f16 v[84:87], a[134:135], v[198:199], v[84:87]// 0000000049F0: D3CD0054 0D538D86
	v_mfma_f32_16x16x16_f16 v[84:87], a[136:137], v[200:201], v[84:87]// 0000000049F8: D3CD0054 0D539188
	v_mfma_f32_16x16x16_f16 v[84:87], a[138:139], v[202:203], v[84:87]// 000000004A00: D3CD0054 0D53958A
	buffer_load_dwordx4 a[12:15], v18, s[12:15], 0 offen offset:3072// 000000004A08: E05C1C00 80830C12
	v_mfma_f32_16x16x16_f16 v[84:87], a[140:141], v[204:205], v[84:87]// 000000004A10: D3CD0054 0D53998C
	v_mfma_f32_16x16x16_f16 v[84:87], a[142:143], v[206:207], v[84:87]// 000000004A18: D3CD0054 0D539D8E
	s_waitcnt lgkmcnt(0)                                       // 000000004A20: BF8CC07F
	s_mov_b64 exec, s[16:17]                                   // 000000004A24: BEFE0110
	global_atomic_pk_add_f16 v34, v10, s[8:9]                  // 000000004A28: DD388000 00080A22
	s_mov_b64 exec, s[38:39]                                   // 000000004A30: BEFE0126
	v_mfma_f32_16x16x16_f16 v[88:91], a[144:145], v[128:129], 0// 000000004A34: D3CD0058 0A030190
	v_mfma_f32_16x16x16_f16 v[88:91], a[146:147], v[130:131], v[88:91]// 000000004A3C: D3CD0058 0D630592
	buffer_load_dwordx4 a[16:19], v19, s[12:15], 0 offen       // 000000004A44: E05C1000 80831013
	v_mfma_f32_16x16x16_f16 v[88:91], a[148:149], v[132:133], v[88:91]// 000000004A4C: D3CD0058 0D630994
	v_mfma_f32_16x16x16_f16 v[88:91], a[150:151], v[134:135], v[88:91]// 000000004A54: D3CD0058 0D630D96
	v_mfma_f32_16x16x16_f16 v[88:91], a[152:153], v[136:137], v[88:91]// 000000004A5C: D3CD0058 0D631198
	v_mfma_f32_16x16x16_f16 v[88:91], a[154:155], v[138:139], v[88:91]// 000000004A64: D3CD0058 0D63159A
	buffer_load_dwordx4 a[20:23], v19, s[12:15], 0 offen offset:1024// 000000004A6C: E05C1400 80831413
	v_mfma_f32_16x16x16_f16 v[88:91], a[156:157], v[140:141], v[88:91]// 000000004A74: D3CD0058 0D63199C
	v_mfma_f32_16x16x16_f16 v[88:91], a[158:159], v[142:143], v[88:91]// 000000004A7C: D3CD0058 0D631D9E
	v_mfma_f32_16x16x16_f16 v[92:95], a[144:145], v[192:193], 0// 000000004A84: D3CD005C 0A038190
	v_mfma_f32_16x16x16_f16 v[92:95], a[146:147], v[194:195], v[92:95]// 000000004A8C: D3CD005C 0D738592
	buffer_load_dwordx4 a[24:27], v19, s[12:15], 0 offen offset:2048// 000000004A94: E05C1800 80831813
	v_mfma_f32_16x16x16_f16 v[92:95], a[148:149], v[196:197], v[92:95]// 000000004A9C: D3CD005C 0D738994
	v_mfma_f32_16x16x16_f16 v[92:95], a[150:151], v[198:199], v[92:95]// 000000004AA4: D3CD005C 0D738D96
	v_mfma_f32_16x16x16_f16 v[92:95], a[152:153], v[200:201], v[92:95]// 000000004AAC: D3CD005C 0D739198
	v_mfma_f32_16x16x16_f16 v[92:95], a[154:155], v[202:203], v[92:95]// 000000004AB4: D3CD005C 0D73959A
	buffer_load_dwordx4 a[28:31], v19, s[12:15], 0 offen offset:3072// 000000004ABC: E05C1C00 80831C13
	v_mfma_f32_16x16x16_f16 v[92:95], a[156:157], v[204:205], v[92:95]// 000000004AC4: D3CD005C 0D73999C
	v_mfma_f32_16x16x16_f16 v[92:95], a[158:159], v[206:207], v[92:95]// 000000004ACC: D3CD005C 0D739D9E
	s_mov_b64 exec, s[18:19]                                   // 000000004AD4: BEFE0112
	global_atomic_pk_add_f16 v36, v11, s[8:9]                  // 000000004AD8: DD388000 00080B24
	s_mov_b64 exec, s[38:39]                                   // 000000004AE0: BEFE0126
	s_waitcnt vmcnt(30)                                        // 000000004AE4: BF8C4F7E
	v_mfma_f32_16x16x16_f16 v[80:83], a[160:161], v[144:145], v[80:83]// 000000004AE8: D3CD0050 0D4321A0
	ds_write_b64 v3, v[64:65] offset:16640                     // 000000004AF0: D89A4100 00004003
	v_mfma_f32_16x16x16_f16 v[80:83], a[162:163], v[146:147], v[80:83]// 000000004AF8: D3CD0050 0D4325A2
	buffer_load_dwordx4 a[32:35], v20, s[12:15], 0 offen       // 000000004B00: E05C1000 80832014
	v_mfma_f32_16x16x16_f16 v[80:83], a[164:165], v[148:149], v[80:83]// 000000004B08: D3CD0050 0D4329A4
	ds_write_b64 v3, v[66:67] offset:20992                     // 000000004B10: D89A5200 00004203
	v_mfma_f32_16x16x16_f16 v[80:83], a[166:167], v[150:151], v[80:83]// 000000004B18: D3CD0050 0D432DA6
	v_mfma_f32_16x16x16_f16 v[80:83], a[168:169], v[152:153], v[80:83]// 000000004B20: D3CD0050 0D4331A8
	ds_write_b64 v3, v[68:69] offset:18816                     // 000000004B28: D89A4980 00004403
	v_mfma_f32_16x16x16_f16 v[80:83], a[170:171], v[154:155], v[80:83]// 000000004B30: D3CD0050 0D4335AA
	buffer_load_dwordx4 a[36:39], v20, s[12:15], 0 offen offset:1024// 000000004B38: E05C1400 80832414
	v_mfma_f32_16x16x16_f16 v[80:83], a[172:173], v[156:157], v[80:83]// 000000004B40: D3CD0050 0D4339AC
	ds_write_b64 v3, v[70:71] offset:23168                     // 000000004B48: D89A5A80 00004603
	v_mfma_f32_16x16x16_f16 v[80:83], a[174:175], v[158:159], v[80:83]// 000000004B50: D3CD0050 0D433DAE
	v_mfma_f32_16x16x16_f16 v[84:87], a[160:161], v[208:209], v[84:87]// 000000004B58: D3CD0054 0D53A1A0
	v_mfma_f32_16x16x16_f16 v[84:87], a[162:163], v[210:211], v[84:87]// 000000004B60: D3CD0054 0D53A5A2
	buffer_load_dwordx4 a[40:43], v20, s[12:15], 0 offen offset:2048// 000000004B68: E05C1800 80832814
	v_mfma_f32_16x16x16_f16 v[84:87], a[164:165], v[212:213], v[84:87]// 000000004B70: D3CD0054 0D53A9A4
	v_mfma_f32_16x16x16_f16 v[84:87], a[166:167], v[214:215], v[84:87]// 000000004B78: D3CD0054 0D53ADA6
	v_mfma_f32_16x16x16_f16 v[84:87], a[168:169], v[216:217], v[84:87]// 000000004B80: D3CD0054 0D53B1A8
	v_mfma_f32_16x16x16_f16 v[84:87], a[170:171], v[218:219], v[84:87]// 000000004B88: D3CD0054 0D53B5AA
	buffer_load_dwordx4 a[44:47], v20, s[12:15], 0 offen offset:3072// 000000004B90: E05C1C00 80832C14
	v_mfma_f32_16x16x16_f16 v[84:87], a[172:173], v[220:221], v[84:87]// 000000004B98: D3CD0054 0D53B9AC
	v_mfma_f32_16x16x16_f16 v[84:87], a[174:175], v[222:223], v[84:87]// 000000004BA0: D3CD0054 0D53BDAE
	s_mov_b64 exec, s[20:21]                                   // 000000004BA8: BEFE0114
	global_atomic_pk_add_f16 v38, v12, s[8:9]                  // 000000004BAC: DD388000 00080C26
	s_mov_b64 exec, s[38:39]                                   // 000000004BB4: BEFE0126
	v_mfma_f32_16x16x16_f16 v[88:91], a[176:177], v[144:145], v[88:91]// 000000004BB8: D3CD0058 0D6321B0
	v_mfma_f32_16x16x16_f16 v[88:91], a[178:179], v[146:147], v[88:91]// 000000004BC0: D3CD0058 0D6325B2
	buffer_load_dwordx4 a[48:51], v21, s[12:15], 0 offen       // 000000004BC8: E05C1000 80833015
	v_mfma_f32_16x16x16_f16 v[88:91], a[180:181], v[148:149], v[88:91]// 000000004BD0: D3CD0058 0D6329B4
	v_mfma_f32_16x16x16_f16 v[88:91], a[182:183], v[150:151], v[88:91]// 000000004BD8: D3CD0058 0D632DB6
	v_mfma_f32_16x16x16_f16 v[88:91], a[184:185], v[152:153], v[88:91]// 000000004BE0: D3CD0058 0D6331B8
	v_mfma_f32_16x16x16_f16 v[88:91], a[186:187], v[154:155], v[88:91]// 000000004BE8: D3CD0058 0D6335BA
	buffer_load_dwordx4 a[52:55], v21, s[12:15], 0 offen offset:1024// 000000004BF0: E05C1400 80833415
	v_mfma_f32_16x16x16_f16 v[88:91], a[188:189], v[156:157], v[88:91]// 000000004BF8: D3CD0058 0D6339BC
	v_mfma_f32_16x16x16_f16 v[88:91], a[190:191], v[158:159], v[88:91]// 000000004C00: D3CD0058 0D633DBE
	v_mfma_f32_16x16x16_f16 v[92:95], a[176:177], v[208:209], v[92:95]// 000000004C08: D3CD005C 0D73A1B0
	v_mfma_f32_16x16x16_f16 v[92:95], a[178:179], v[210:211], v[92:95]// 000000004C10: D3CD005C 0D73A5B2
	buffer_load_dwordx4 a[56:59], v21, s[12:15], 0 offen offset:2048// 000000004C18: E05C1800 80833815
	v_mfma_f32_16x16x16_f16 v[92:95], a[180:181], v[212:213], v[92:95]// 000000004C20: D3CD005C 0D73A9B4
	v_mfma_f32_16x16x16_f16 v[92:95], a[182:183], v[214:215], v[92:95]// 000000004C28: D3CD005C 0D73ADB6
	v_mfma_f32_16x16x16_f16 v[92:95], a[184:185], v[216:217], v[92:95]// 000000004C30: D3CD005C 0D73B1B8
	v_mfma_f32_16x16x16_f16 v[92:95], a[186:187], v[218:219], v[92:95]// 000000004C38: D3CD005C 0D73B5BA
	buffer_load_dwordx4 a[60:63], v21, s[12:15], 0 offen offset:3072// 000000004C40: E05C1C00 80833C15
	v_mfma_f32_16x16x16_f16 v[92:95], a[188:189], v[220:221], v[92:95]// 000000004C48: D3CD005C 0D73B9BC
	v_mfma_f32_16x16x16_f16 v[92:95], a[190:191], v[222:223], v[92:95]// 000000004C50: D3CD005C 0D73BDBE
	s_mov_b64 exec, s[22:23]                                   // 000000004C58: BEFE0116
	global_atomic_pk_add_f16 v40, v13, s[8:9]                  // 000000004C5C: DD388000 00080D28
	s_mov_b64 exec, s[38:39]                                   // 000000004C64: BEFE0126
	s_waitcnt vmcnt(30)                                        // 000000004C68: BF8C4F7E
	v_mfma_f32_16x16x16_f16 v[80:83], a[192:193], v[160:161], v[80:83]// 000000004C6C: D3CD0050 0D4341C0
	v_mfma_f32_16x16x16_f16 v[80:83], a[194:195], v[162:163], v[80:83]// 000000004C74: D3CD0050 0D4345C2
	buffer_load_dwordx4 a[64:67], v22, s[12:15], 0 offen       // 000000004C7C: E05C1000 80834016
	v_mfma_f32_16x16x16_f16 v[80:83], a[196:197], v[164:165], v[80:83]// 000000004C84: D3CD0050 0D4349C4
	s_add_u32 s60, 0x100, s80                                  // 000000004C8C: 803C50FF 00000100
	s_cmp_lt_u32 s60, s81                                      // 000000004C94: BF0A513C
	s_cselect_b32 s56, s56, 0                                  // 000000004C98: 85388038
	v_mfma_f32_16x16x16_f16 v[80:83], a[198:199], v[166:167], v[80:83]// 000000004C9C: D3CD0050 0D434DC6
	v_mfma_f32_16x16x16_f16 v[80:83], a[200:201], v[168:169], v[80:83]// 000000004CA4: D3CD0050 0D4351C8
	v_mfma_f32_16x16x16_f16 v[80:83], a[202:203], v[170:171], v[80:83]// 000000004CAC: D3CD0050 0D4355CA
	buffer_load_dwordx4 a[68:71], v22, s[12:15], 0 offen offset:1024// 000000004CB4: E05C1400 80834416
	v_mfma_f32_16x16x16_f16 v[80:83], a[204:205], v[172:173], v[80:83]// 000000004CBC: D3CD0050 0D4359CC
	s_cmp_ge_u32 s80, 0x100                                    // 000000004CC4: BF09FF50 00000100
	s_cselect_b32 s59, 0x100, s59                              // 000000004CCC: 853B3BFF 00000100
	v_mfma_f32_16x16x16_f16 v[80:83], a[206:207], v[174:175], v[80:83]// 000000004CD4: D3CD0050 0D435DCE
	v_mfma_f32_16x16x16_f16 v[84:87], a[192:193], v[224:225], v[84:87]// 000000004CDC: D3CD0054 0D53C1C0
	v_mfma_f32_16x16x16_f16 v[84:87], a[194:195], v[226:227], v[84:87]// 000000004CE4: D3CD0054 0D53C5C2
	buffer_load_dwordx4 a[72:75], v22, s[12:15], 0 offen offset:2048// 000000004CEC: E05C1800 80834816
	v_mfma_f32_16x16x16_f16 v[84:87], a[196:197], v[228:229], v[84:87]// 000000004CF4: D3CD0054 0D53C9C4
	s_add_u32 s16, s57, s16                                    // 000000004CFC: 80101039
	s_addc_u32 s17, 0, s17                                     // 000000004D00: 82111180
	v_mfma_f32_16x16x16_f16 v[84:87], a[198:199], v[230:231], v[84:87]// 000000004D04: D3CD0054 0D53CDC6
	v_mfma_f32_16x16x16_f16 v[84:87], a[200:201], v[232:233], v[84:87]// 000000004D0C: D3CD0054 0D53D1C8
	v_mfma_f32_16x16x16_f16 v[84:87], a[202:203], v[234:235], v[84:87]// 000000004D14: D3CD0054 0D53D5CA
	buffer_load_dwordx4 a[76:79], v22, s[12:15], 0 offen offset:3072// 000000004D1C: E05C1C00 80834C16
	v_mfma_f32_16x16x16_f16 v[84:87], a[204:205], v[236:237], v[84:87]// 000000004D24: D3CD0054 0D53D9CC
	v_mfma_f32_16x16x16_f16 v[84:87], a[206:207], v[238:239], v[84:87]// 000000004D2C: D3CD0054 0D53DDCE
	s_mov_b64 exec, s[24:25]                                   // 000000004D34: BEFE0118
	global_atomic_pk_add_f16 v42, v14, s[8:9]                  // 000000004D38: DD388000 00080E2A
	s_mov_b64 exec, s[38:39]                                   // 000000004D40: BEFE0126
	v_mfma_f32_16x16x16_f16 v[88:91], a[208:209], v[160:161], v[88:91]// 000000004D44: D3CD0058 0D6341D0
	v_mfma_f32_16x16x16_f16 v[88:91], a[210:211], v[162:163], v[88:91]// 000000004D4C: D3CD0058 0D6345D2
	buffer_load_dwordx4 a[80:83], v23, s[12:15], 0 offen       // 000000004D54: E05C1000 80835017
	v_mfma_f32_16x16x16_f16 v[88:91], a[212:213], v[164:165], v[88:91]// 000000004D5C: D3CD0058 0D6349D4
	v_mfma_f32_16x16x16_f16 v[88:91], a[214:215], v[166:167], v[88:91]// 000000004D64: D3CD0058 0D634DD6
	v_mfma_f32_16x16x16_f16 v[88:91], a[216:217], v[168:169], v[88:91]// 000000004D6C: D3CD0058 0D6351D8
	v_mfma_f32_16x16x16_f16 v[88:91], a[218:219], v[170:171], v[88:91]// 000000004D74: D3CD0058 0D6355DA
	buffer_load_dwordx4 a[84:87], v23, s[12:15], 0 offen offset:1024// 000000004D7C: E05C1400 80835417
	v_mfma_f32_16x16x16_f16 v[88:91], a[220:221], v[172:173], v[88:91]// 000000004D84: D3CD0058 0D6359DC
	v_mfma_f32_16x16x16_f16 v[88:91], a[222:223], v[174:175], v[88:91]// 000000004D8C: D3CD0058 0D635DDE
	v_mfma_f32_16x16x16_f16 v[92:95], a[208:209], v[224:225], v[92:95]// 000000004D94: D3CD005C 0D73C1D0
	v_mfma_f32_16x16x16_f16 v[92:95], a[210:211], v[226:227], v[92:95]// 000000004D9C: D3CD005C 0D73C5D2
	buffer_load_dwordx4 a[88:91], v23, s[12:15], 0 offen offset:2048// 000000004DA4: E05C1800 80835817
	v_mfma_f32_16x16x16_f16 v[92:95], a[212:213], v[228:229], v[92:95]// 000000004DAC: D3CD005C 0D73C9D4
	v_mfma_f32_16x16x16_f16 v[92:95], a[214:215], v[230:231], v[92:95]// 000000004DB4: D3CD005C 0D73CDD6
	v_mfma_f32_16x16x16_f16 v[92:95], a[216:217], v[232:233], v[92:95]// 000000004DBC: D3CD005C 0D73D1D8
	v_mfma_f32_16x16x16_f16 v[92:95], a[218:219], v[234:235], v[92:95]// 000000004DC4: D3CD005C 0D73D5DA
	buffer_load_dwordx4 a[92:95], v23, s[12:15], 0 offen offset:3072// 000000004DCC: E05C1C00 80835C17
	v_mfma_f32_16x16x16_f16 v[92:95], a[220:221], v[236:237], v[92:95]// 000000004DD4: D3CD005C 0D73D9DC
	v_mfma_f32_16x16x16_f16 v[92:95], a[222:223], v[238:239], v[92:95]// 000000004DDC: D3CD005C 0D73DDDE
	s_mov_b64 exec, s[26:27]                                   // 000000004DE4: BEFE011A
	global_atomic_pk_add_f16 v44, v15, s[8:9]                  // 000000004DE8: DD388000 00080F2C
	s_mov_b64 exec, s[38:39]                                   // 000000004DF0: BEFE0126
	s_waitcnt vmcnt(30)                                        // 000000004DF4: BF8C4F7E
	v_mfma_f32_16x16x16_f16 v[80:83], a[224:225], v[176:177], v[80:83]// 000000004DF8: D3CD0050 0D4361E0
	v_mfma_f32_16x16x16_f16 v[80:83], a[226:227], v[178:179], v[80:83]// 000000004E00: D3CD0050 0D4365E2
	buffer_load_dwordx4 a[96:99], v24, s[12:15], 0 offen       // 000000004E08: E05C1000 80836018
	v_mfma_f32_16x16x16_f16 v[80:83], a[228:229], v[180:181], v[80:83]// 000000004E10: D3CD0050 0D4369E4
	v_mfma_f32_16x16x16_f16 v[80:83], a[230:231], v[182:183], v[80:83]// 000000004E18: D3CD0050 0D436DE6
	v_mfma_f32_16x16x16_f16 v[80:83], a[232:233], v[184:185], v[80:83]// 000000004E20: D3CD0050 0D4371E8
	v_mfma_f32_16x16x16_f16 v[80:83], a[234:235], v[186:187], v[80:83]// 000000004E28: D3CD0050 0D4375EA
	buffer_load_dwordx4 a[100:103], v24, s[12:15], 0 offen offset:1024// 000000004E30: E05C1400 80836418
	v_mfma_f32_16x16x16_f16 v[80:83], a[236:237], v[188:189], v[80:83]// 000000004E38: D3CD0050 0D4379EC
	v_mfma_f32_16x16x16_f16 v[80:83], a[238:239], v[190:191], v[80:83]// 000000004E40: D3CD0050 0D437DEE
	v_mfma_f32_16x16x16_f16 v[84:87], a[224:225], v[240:241], v[84:87]// 000000004E48: D3CD0054 0D53E1E0
	v_mfma_f32_16x16x16_f16 v[84:87], a[226:227], v[242:243], v[84:87]// 000000004E50: D3CD0054 0D53E5E2
	buffer_load_dwordx4 a[104:107], v24, s[12:15], 0 offen offset:2048// 000000004E58: E05C1800 80836818
	v_mfma_f32_16x16x16_f16 v[84:87], a[228:229], v[244:245], v[84:87]// 000000004E60: D3CD0054 0D53E9E4
	v_mfma_f32_16x16x16_f16 v[84:87], a[230:231], v[246:247], v[84:87]// 000000004E68: D3CD0054 0D53EDE6
	v_mfma_f32_16x16x16_f16 v[84:87], a[232:233], v[248:249], v[84:87]// 000000004E70: D3CD0054 0D53F1E8
	v_mfma_f32_16x16x16_f16 v[84:87], a[234:235], v[250:251], v[84:87]// 000000004E78: D3CD0054 0D53F5EA
	buffer_load_dwordx4 a[108:111], v24, s[12:15], 0 offen offset:3072// 000000004E80: E05C1C00 80836C18
	v_mfma_f32_16x16x16_f16 v[84:87], a[236:237], v[252:253], v[84:87]// 000000004E88: D3CD0054 0D53F9EC
	v_mfma_f32_16x16x16_f16 v[84:87], a[238:239], v[254:255], v[84:87]// 000000004E90: D3CD0054 0D53FDEE
	s_mov_b64 exec, s[28:29]                                   // 000000004E98: BEFE011C
	global_atomic_pk_add_f16 v46, v16, s[8:9]                  // 000000004E9C: DD388000 0008102E
	s_mov_b64 exec, s[38:39]                                   // 000000004EA4: BEFE0126
	v_mfma_f32_16x16x16_f16 v[88:91], a[240:241], v[176:177], v[88:91]// 000000004EA8: D3CD0058 0D6361F0
	v_mfma_f32_16x16x16_f16 v[88:91], a[242:243], v[178:179], v[88:91]// 000000004EB0: D3CD0058 0D6365F2
	buffer_load_dwordx4 a[112:115], v25, s[12:15], 0 offen     // 000000004EB8: E05C1000 80837019
	v_mfma_f32_16x16x16_f16 v[88:91], a[244:245], v[180:181], v[88:91]// 000000004EC0: D3CD0058 0D6369F4
	v_mfma_f32_16x16x16_f16 v[88:91], a[246:247], v[182:183], v[88:91]// 000000004EC8: D3CD0058 0D636DF6
	v_mfma_f32_16x16x16_f16 v[88:91], a[248:249], v[184:185], v[88:91]// 000000004ED0: D3CD0058 0D6371F8
	v_mfma_f32_16x16x16_f16 v[88:91], a[250:251], v[186:187], v[88:91]// 000000004ED8: D3CD0058 0D6375FA
	buffer_load_dwordx4 a[116:119], v25, s[12:15], 0 offen offset:1024// 000000004EE0: E05C1400 80837419
	v_mfma_f32_16x16x16_f16 v[88:91], a[252:253], v[188:189], v[88:91]// 000000004EE8: D3CD0058 0D6379FC
	v_mfma_f32_16x16x16_f16 v[88:91], a[254:255], v[190:191], v[88:91]// 000000004EF0: D3CD0058 0D637DFE
	v_mfma_f32_16x16x16_f16 v[92:95], a[240:241], v[240:241], v[92:95]// 000000004EF8: D3CD005C 0D73E1F0
	v_mfma_f32_16x16x16_f16 v[92:95], a[242:243], v[242:243], v[92:95]// 000000004F00: D3CD005C 0D73E5F2
	buffer_load_dwordx4 a[120:123], v25, s[12:15], 0 offen offset:2048// 000000004F08: E05C1800 80837819
	v_mfma_f32_16x16x16_f16 v[92:95], a[244:245], v[244:245], v[92:95]// 000000004F10: D3CD005C 0D73E9F4
	v_mfma_f32_16x16x16_f16 v[92:95], a[246:247], v[246:247], v[92:95]// 000000004F18: D3CD005C 0D73EDF6
	v_mfma_f32_16x16x16_f16 v[92:95], a[248:249], v[248:249], v[92:95]// 000000004F20: D3CD005C 0D73F1F8
	v_mfma_f32_16x16x16_f16 v[92:95], a[250:251], v[250:251], v[92:95]// 000000004F28: D3CD005C 0D73F5FA
	buffer_load_dwordx4 a[124:127], v25, s[12:15], 0 offen offset:3072// 000000004F30: E05C1C00 80837C19
	v_mfma_f32_16x16x16_f16 v[92:95], a[252:253], v[252:253], v[92:95]// 000000004F38: D3CD005C 0D73F9FC
	s_add_u32 s12, s56, s12                                    // 000000004F40: 800C0C38
	s_addc_u32 s13, 0, s13                                     // 000000004F44: 820D0D80
	v_mfma_f32_16x16x16_f16 v[92:95], a[254:255], v[254:255], v[92:95]// 000000004F48: D3CD005C 0D73FDFE
	s_mov_b64 exec, s[30:31]                                   // 000000004F50: BEFE011E
	global_atomic_pk_add_f16 v48, v17, s[8:9]                  // 000000004F54: DD388000 00081130
	s_mov_b64 exec, s[38:39]                                   // 000000004F5C: BEFE0126
	s_add_u32 s8, s59, s8                                      // 000000004F60: 8008083B
	s_addc_u32 s9, 0, s9                                       // 000000004F64: 82090980
	v_mul_f32_e32 v80, v8, v80                                 // 000000004F68: 0AA0A108
	v_mul_f32_e32 v81, v8, v81                                 // 000000004F6C: 0AA2A308
	v_mul_f32_e32 v82, v8, v82                                 // 000000004F70: 0AA4A508
	v_mul_f32_e32 v83, v8, v83                                 // 000000004F74: 0AA6A708
	v_mul_f32_e32 v84, v9, v84                                 // 000000004F78: 0AA8A909
	v_mul_f32_e32 v85, v9, v85                                 // 000000004F7C: 0AAAAB09
	v_mul_f32_e32 v86, v9, v86                                 // 000000004F80: 0AACAD09
	v_mul_f32_e32 v87, v9, v87                                 // 000000004F84: 0AAEAF09
	v_mul_f32_e32 v88, v8, v88                                 // 000000004F88: 0AB0B108
	v_mul_f32_e32 v89, v8, v89                                 // 000000004F8C: 0AB2B308
	v_mul_f32_e32 v90, v8, v90                                 // 000000004F90: 0AB4B508
	v_mul_f32_e32 v91, v8, v91                                 // 000000004F94: 0AB6B708
	v_mul_f32_e32 v92, v9, v92                                 // 000000004F98: 0AB8B909
	v_mul_f32_e32 v93, v9, v93                                 // 000000004F9C: 0ABABB09
	v_mul_f32_e32 v94, v9, v94                                 // 000000004FA0: 0ABCBD09
	v_mul_f32_e32 v95, v9, v95                                 // 000000004FA4: 0ABEBF09
	v_cvt_f16_f32_e32 v80, v80                                 // 000000004FA8: 7EA01550
	v_cvt_f16_f32_sdwa v80, v81 dst_sel:WORD_1 dst_unused:UNUSED_PRESERVE src0_sel:DWORD// 000000004FAC: 7EA014F9 00061551
	v_cvt_f16_f32_e32 v81, v82                                 // 000000004FB4: 7EA21552
	v_cvt_f16_f32_sdwa v81, v83 dst_sel:WORD_1 dst_unused:UNUSED_PRESERVE src0_sel:DWORD// 000000004FB8: 7EA214F9 00061553
	v_cvt_f16_f32_e32 v82, v84                                 // 000000004FC0: 7EA41554
	v_cvt_f16_f32_sdwa v82, v85 dst_sel:WORD_1 dst_unused:UNUSED_PRESERVE src0_sel:DWORD// 000000004FC4: 7EA414F9 00061555
	v_cvt_f16_f32_e32 v83, v86                                 // 000000004FCC: 7EA61556
	v_cvt_f16_f32_sdwa v83, v87 dst_sel:WORD_1 dst_unused:UNUSED_PRESERVE src0_sel:DWORD// 000000004FD0: 7EA614F9 00061557
	v_cvt_f16_f32_e32 v84, v88                                 // 000000004FD8: 7EA81558
	v_cvt_f16_f32_sdwa v84, v89 dst_sel:WORD_1 dst_unused:UNUSED_PRESERVE src0_sel:DWORD// 000000004FDC: 7EA814F9 00061559
	v_cvt_f16_f32_e32 v85, v90                                 // 000000004FE4: 7EAA155A
	v_cvt_f16_f32_sdwa v85, v91 dst_sel:WORD_1 dst_unused:UNUSED_PRESERVE src0_sel:DWORD// 000000004FE8: 7EAA14F9 0006155B
	v_cvt_f16_f32_e32 v86, v92                                 // 000000004FF0: 7EAC155C
	v_cvt_f16_f32_sdwa v86, v93 dst_sel:WORD_1 dst_unused:UNUSED_PRESERVE src0_sel:DWORD// 000000004FF4: 7EAC14F9 0006155D
	v_cvt_f16_f32_e32 v87, v94                                 // 000000004FFC: 7EAE155E
	v_cvt_f16_f32_sdwa v87, v95 dst_sel:WORD_1 dst_unused:UNUSED_PRESERVE src0_sel:DWORD// 000000005000: 7EAE14F9 0006155F
	s_addk_i32 s80, 0x80                                       // 000000005008: B7500080
	s_cmp_lt_i32 s80, s81                                      // 00000000500C: BF045150
	s_cbranch_scc0 label_0ED8                                  // 000000005010: BF840001
	s_branch label_0AB9                                        // 000000005014: BF82FC91

0000000000005018 <label_0ED8>:
	s_nop 0                                                    // 000000005018: BF800000
	s_nop 0                                                    // 00000000501C: BF800000
	s_branch label_1BA1                                        // 000000005020: BF820AB6

0000000000005024 <label_0EDB>:
	s_waitcnt vmcnt(24) lgkmcnt(0)                             // 000000005024: BF8C4078
	s_barrier                                                  // 000000005028: BF8A0000
	v_mfma_f32_16x16x16_f16 v[128:131], a[0:1], v[64:65], v[128:131]// 00000000502C: D3CD0080 0E028100
	buffer_load_dwordx4 a[128:131], v26, s[20:23], 0 offen     // 000000005034: E05C1000 8085801A
	v_mfma_f32_16x16x16_f16 v[128:131], a[2:3], v[66:67], v[128:131]// 00000000503C: D3CD0080 0E028502
	v_mfma_f32_16x16x16_f16 v[128:131], a[4:5], v[68:69], v[128:131]// 000000005044: D3CD0080 0E028904
	buffer_load_dword v10, s[16:19], 0 offen lds               // 00000000504C: E0511000 8004000A
	s_add_u32 m0, 0x100, s36                                   // 000000005054: 807C24FF 00000100
	v_mfma_f32_16x16x16_f16 v[128:131], a[6:7], v[70:71], v[128:131]// 00000000505C: D3CD0080 0E028D06
	v_mfma_f32_16x16x16_f16 v[128:131], a[8:9], v[72:73], v[128:131]// 000000005064: D3CD0080 0E029108
	buffer_load_dwordx4 a[132:135], v26, s[20:23], 0 offen offset:1024// 00000000506C: E05C1400 8085841A
	v_mfma_f32_16x16x16_f16 v[128:131], a[10:11], v[74:75], v[128:131]// 000000005074: D3CD0080 0E02950A
	v_mfma_f32_16x16x16_f16 v[128:131], a[12:13], v[76:77], v[128:131]// 00000000507C: D3CD0080 0E02990C
	buffer_load_dword v11, s[16:19], 0 offen lds               // 000000005084: E0511000 8004000B
	s_add_u32 m0, 0x200, s36                                   // 00000000508C: 807C24FF 00000200
	v_mfma_f32_16x16x16_f16 v[128:131], a[14:15], v[78:79], v[128:131]// 000000005094: D3CD0080 0E029D0E
	v_mfma_f32_16x16x16_f16 v[132:135], a[0:1], v[80:81], v[132:135]// 00000000509C: D3CD0084 0E12A100
	buffer_load_dwordx4 a[136:139], v26, s[20:23], 0 offen offset:2048// 0000000050A4: E05C1800 8085881A
	v_mfma_f32_16x16x16_f16 v[132:135], a[2:3], v[82:83], v[132:135]// 0000000050AC: D3CD0084 0E12A502
	v_mfma_f32_16x16x16_f16 v[132:135], a[4:5], v[84:85], v[132:135]// 0000000050B4: D3CD0084 0E12A904
	buffer_load_dword v12, s[16:19], 0 offen lds               // 0000000050BC: E0511000 8004000C
	s_add_u32 m0, 0x300, s36                                   // 0000000050C4: 807C24FF 00000300
	v_mfma_f32_16x16x16_f16 v[132:135], a[6:7], v[86:87], v[132:135]// 0000000050CC: D3CD0084 0E12AD06
	v_mfma_f32_16x16x16_f16 v[132:135], a[8:9], v[88:89], v[132:135]// 0000000050D4: D3CD0084 0E12B108
	buffer_load_dwordx4 a[140:143], v26, s[20:23], 0 offen offset:3072// 0000000050DC: E05C1C00 80858C1A
	v_mfma_f32_16x16x16_f16 v[132:135], a[10:11], v[90:91], v[132:135]// 0000000050E4: D3CD0084 0E12B50A
	v_mfma_f32_16x16x16_f16 v[132:135], a[12:13], v[92:93], v[132:135]// 0000000050EC: D3CD0084 0E12B90C
	buffer_load_dword v13, s[16:19], 0 offen lds               // 0000000050F4: E0511000 8004000D
	s_add_u32 m0, 0x400, s36                                   // 0000000050FC: 807C24FF 00000400
	v_mfma_f32_16x16x16_f16 v[132:135], a[14:15], v[94:95], v[132:135]// 000000005104: D3CD0084 0E12BD0E
	v_mfma_f32_16x16x16_f16 v[136:139], a[16:17], v[64:65], v[136:139]// 00000000510C: D3CD0088 0E228110
	buffer_load_dwordx4 a[144:147], v27, s[20:23], 0 offen     // 000000005114: E05C1000 8085901B
	v_mfma_f32_16x16x16_f16 v[136:139], a[18:19], v[66:67], v[136:139]// 00000000511C: D3CD0088 0E228512
	v_mfma_f32_16x16x16_f16 v[136:139], a[20:21], v[68:69], v[136:139]// 000000005124: D3CD0088 0E228914
	buffer_load_dword v14, s[16:19], 0 offen lds               // 00000000512C: E0511000 8004000E
	s_add_u32 m0, 0x500, s36                                   // 000000005134: 807C24FF 00000500
	v_mfma_f32_16x16x16_f16 v[136:139], a[22:23], v[70:71], v[136:139]// 00000000513C: D3CD0088 0E228D16
	v_mfma_f32_16x16x16_f16 v[136:139], a[24:25], v[72:73], v[136:139]// 000000005144: D3CD0088 0E229118
	buffer_load_dwordx4 a[148:151], v27, s[20:23], 0 offen offset:1024// 00000000514C: E05C1400 8085941B
	v_mfma_f32_16x16x16_f16 v[136:139], a[26:27], v[74:75], v[136:139]// 000000005154: D3CD0088 0E22951A
	v_mfma_f32_16x16x16_f16 v[136:139], a[28:29], v[76:77], v[136:139]// 00000000515C: D3CD0088 0E22991C
	buffer_load_dword v15, s[16:19], 0 offen lds               // 000000005164: E0511000 8004000F
	s_add_u32 m0, 0x600, s36                                   // 00000000516C: 807C24FF 00000600
	v_mfma_f32_16x16x16_f16 v[136:139], a[30:31], v[78:79], v[136:139]// 000000005174: D3CD0088 0E229D1E
	v_mfma_f32_16x16x16_f16 v[140:143], a[16:17], v[80:81], v[140:143]// 00000000517C: D3CD008C 0E32A110
	buffer_load_dwordx4 a[152:155], v27, s[20:23], 0 offen offset:2048// 000000005184: E05C1800 8085981B
	v_mfma_f32_16x16x16_f16 v[140:143], a[18:19], v[82:83], v[140:143]// 00000000518C: D3CD008C 0E32A512
	v_mfma_f32_16x16x16_f16 v[140:143], a[20:21], v[84:85], v[140:143]// 000000005194: D3CD008C 0E32A914
	buffer_load_dword v16, s[16:19], 0 offen lds               // 00000000519C: E0511000 80040010
	s_add_u32 m0, 0x700, s36                                   // 0000000051A4: 807C24FF 00000700
	v_mfma_f32_16x16x16_f16 v[140:143], a[22:23], v[86:87], v[140:143]// 0000000051AC: D3CD008C 0E32AD16
	v_mfma_f32_16x16x16_f16 v[140:143], a[24:25], v[88:89], v[140:143]// 0000000051B4: D3CD008C 0E32B118
	buffer_load_dwordx4 a[156:159], v27, s[20:23], 0 offen offset:3072// 0000000051BC: E05C1C00 80859C1B
	v_mfma_f32_16x16x16_f16 v[140:143], a[26:27], v[90:91], v[140:143]// 0000000051C4: D3CD008C 0E32B51A
	v_mfma_f32_16x16x16_f16 v[140:143], a[28:29], v[92:93], v[140:143]// 0000000051CC: D3CD008C 0E32B91C
	buffer_load_dword v17, s[16:19], 0 offen lds               // 0000000051D4: E0511000 80040011
	s_add_u32 m0, 0, s37                                       // 0000000051DC: 807C2580
	v_mfma_f32_16x16x16_f16 v[140:143], a[30:31], v[94:95], v[140:143]// 0000000051E0: D3CD008C 0E32BD1E
	s_waitcnt vmcnt(32)                                        // 0000000051E8: BF8C8F70
	v_mfma_f32_16x16x16_f16 v[144:147], a[32:33], v[64:65], v[144:147]// 0000000051EC: D3CD0090 0E428120
	buffer_load_dwordx4 a[160:163], v28, s[20:23], 0 offen     // 0000000051F4: E05C1000 8085A01C
	v_mfma_f32_16x16x16_f16 v[144:147], a[34:35], v[66:67], v[144:147]// 0000000051FC: D3CD0090 0E428522
	v_mfma_f32_16x16x16_f16 v[144:147], a[36:37], v[68:69], v[144:147]// 000000005204: D3CD0090 0E428924
	ds_read_b128 v[96:99], v2 offset:8320                      // 00000000520C: D9FE2080 60000002
	v_mfma_f32_16x16x16_f16 v[144:147], a[38:39], v[70:71], v[144:147]// 000000005214: D3CD0090 0E428D26
	v_mfma_f32_16x16x16_f16 v[144:147], a[40:41], v[72:73], v[144:147]// 00000000521C: D3CD0090 0E429128
	buffer_load_dwordx4 a[164:167], v28, s[20:23], 0 offen offset:1024// 000000005224: E05C1400 8085A41C
	v_mfma_f32_16x16x16_f16 v[144:147], a[42:43], v[74:75], v[144:147]// 00000000522C: D3CD0090 0E42952A
	v_mfma_f32_16x16x16_f16 v[144:147], a[44:45], v[76:77], v[144:147]// 000000005234: D3CD0090 0E42992C
	ds_read_b128 v[100:103], v2 offset:8384                    // 00000000523C: D9FE20C0 64000002
	v_mfma_f32_16x16x16_f16 v[144:147], a[46:47], v[78:79], v[144:147]// 000000005244: D3CD0090 0E429D2E
	v_mfma_f32_16x16x16_f16 v[148:151], a[32:33], v[80:81], v[148:151]// 00000000524C: D3CD0094 0E52A120
	buffer_load_dwordx4 a[168:171], v28, s[20:23], 0 offen offset:2048// 000000005254: E05C1800 8085A81C
	v_mfma_f32_16x16x16_f16 v[148:151], a[34:35], v[82:83], v[148:151]// 00000000525C: D3CD0094 0E52A522
	v_mfma_f32_16x16x16_f16 v[148:151], a[36:37], v[84:85], v[148:151]// 000000005264: D3CD0094 0E52A924
	ds_read_b128 v[104:107], v2 offset:8448                    // 00000000526C: D9FE2100 68000002
	v_mfma_f32_16x16x16_f16 v[148:151], a[38:39], v[86:87], v[148:151]// 000000005274: D3CD0094 0E52AD26
	v_mfma_f32_16x16x16_f16 v[148:151], a[40:41], v[88:89], v[148:151]// 00000000527C: D3CD0094 0E52B128
	buffer_load_dwordx4 a[172:175], v28, s[20:23], 0 offen offset:3072// 000000005284: E05C1C00 8085AC1C
	v_mfma_f32_16x16x16_f16 v[148:151], a[42:43], v[90:91], v[148:151]// 00000000528C: D3CD0094 0E52B52A
	v_mfma_f32_16x16x16_f16 v[148:151], a[44:45], v[92:93], v[148:151]// 000000005294: D3CD0094 0E52B92C
	ds_read_b128 v[108:111], v2 offset:8512                    // 00000000529C: D9FE2140 6C000002
	v_mfma_f32_16x16x16_f16 v[148:151], a[46:47], v[94:95], v[148:151]// 0000000052A4: D3CD0094 0E52BD2E
	v_mfma_f32_16x16x16_f16 v[152:155], a[48:49], v[64:65], v[152:155]// 0000000052AC: D3CD0098 0E628130
	buffer_load_dwordx4 a[176:179], v29, s[20:23], 0 offen     // 0000000052B4: E05C1000 8085B01D
	v_mfma_f32_16x16x16_f16 v[152:155], a[50:51], v[66:67], v[152:155]// 0000000052BC: D3CD0098 0E628532
	v_mfma_f32_16x16x16_f16 v[152:155], a[52:53], v[68:69], v[152:155]// 0000000052C4: D3CD0098 0E628934
	ds_read_b128 v[112:115], v2 offset:9344                    // 0000000052CC: D9FE2480 70000002
	v_mfma_f32_16x16x16_f16 v[152:155], a[54:55], v[70:71], v[152:155]// 0000000052D4: D3CD0098 0E628D36
	v_mfma_f32_16x16x16_f16 v[152:155], a[56:57], v[72:73], v[152:155]// 0000000052DC: D3CD0098 0E629138
	buffer_load_dwordx4 a[180:183], v29, s[20:23], 0 offen offset:1024// 0000000052E4: E05C1400 8085B41D
	v_mfma_f32_16x16x16_f16 v[152:155], a[58:59], v[74:75], v[152:155]// 0000000052EC: D3CD0098 0E62953A
	v_mfma_f32_16x16x16_f16 v[152:155], a[60:61], v[76:77], v[152:155]// 0000000052F4: D3CD0098 0E62993C
	ds_read_b128 v[116:119], v2 offset:9408                    // 0000000052FC: D9FE24C0 74000002
	v_mfma_f32_16x16x16_f16 v[152:155], a[62:63], v[78:79], v[152:155]// 000000005304: D3CD0098 0E629D3E
	v_mfma_f32_16x16x16_f16 v[156:159], a[48:49], v[80:81], v[156:159]// 00000000530C: D3CD009C 0E72A130
	buffer_load_dwordx4 a[184:187], v29, s[20:23], 0 offen offset:2048// 000000005314: E05C1800 8085B81D
	v_mfma_f32_16x16x16_f16 v[156:159], a[50:51], v[82:83], v[156:159]// 00000000531C: D3CD009C 0E72A532
	v_mfma_f32_16x16x16_f16 v[156:159], a[52:53], v[84:85], v[156:159]// 000000005324: D3CD009C 0E72A934
	ds_read_b128 v[120:123], v2 offset:9472                    // 00000000532C: D9FE2500 78000002
	v_mfma_f32_16x16x16_f16 v[156:159], a[54:55], v[86:87], v[156:159]// 000000005334: D3CD009C 0E72AD36
	v_mfma_f32_16x16x16_f16 v[156:159], a[56:57], v[88:89], v[156:159]// 00000000533C: D3CD009C 0E72B138
	buffer_load_dwordx4 a[188:191], v29, s[20:23], 0 offen offset:3072// 000000005344: E05C1C00 8085BC1D
	v_mfma_f32_16x16x16_f16 v[156:159], a[58:59], v[90:91], v[156:159]// 00000000534C: D3CD009C 0E72B53A
	v_mfma_f32_16x16x16_f16 v[156:159], a[60:61], v[92:93], v[156:159]// 000000005354: D3CD009C 0E72B93C
	ds_read_b128 v[124:127], v2 offset:9536                    // 00000000535C: D9FE2540 7C000002
	v_mfma_f32_16x16x16_f16 v[156:159], a[62:63], v[94:95], v[156:159]// 000000005364: D3CD009C 0E72BD3E
	s_waitcnt vmcnt(32)                                        // 00000000536C: BF8C8F70
	v_mfma_f32_16x16x16_f16 v[160:163], a[64:65], v[64:65], v[160:163]// 000000005370: D3CD00A0 0E828140
	buffer_load_dwordx4 a[192:195], v30, s[20:23], 0 offen     // 000000005378: E05C1000 8085C01E
	v_mfma_f32_16x16x16_f16 v[160:163], a[66:67], v[66:67], v[160:163]// 000000005380: D3CD00A0 0E828542
	v_mfma_f32_16x16x16_f16 v[160:163], a[68:69], v[68:69], v[160:163]// 000000005388: D3CD00A0 0E828944
	s_add_u32 s60, 0x180, s80                                  // 000000005390: 803C50FF 00000180
	s_cmp_lt_u32 s60, s81                                      // 000000005398: BF0A513C
	s_cselect_b32 s57, s57, 0                                  // 00000000539C: 85398039
	v_mfma_f32_16x16x16_f16 v[160:163], a[70:71], v[70:71], v[160:163]// 0000000053A0: D3CD00A0 0E828D46
	v_mfma_f32_16x16x16_f16 v[160:163], a[72:73], v[72:73], v[160:163]// 0000000053A8: D3CD00A0 0E829148
	buffer_load_dwordx4 a[196:199], v30, s[20:23], 0 offen offset:1024// 0000000053B0: E05C1400 8085C41E
	v_mfma_f32_16x16x16_f16 v[160:163], a[74:75], v[74:75], v[160:163]// 0000000053B8: D3CD00A0 0E82954A
	v_mfma_f32_16x16x16_f16 v[160:163], a[76:77], v[76:77], v[160:163]// 0000000053C0: D3CD00A0 0E82994C
	s_add_u32 s60, 0x100, s80                                  // 0000000053C8: 803C50FF 00000100
	s_cmp_lt_u32 s60, s81                                      // 0000000053D0: BF0A513C
	s_cselect_b32 s58, s58, 0                                  // 0000000053D4: 853A803A
	v_mfma_f32_16x16x16_f16 v[160:163], a[78:79], v[78:79], v[160:163]// 0000000053D8: D3CD00A0 0E829D4E
	v_mfma_f32_16x16x16_f16 v[164:167], a[64:65], v[80:81], v[164:167]// 0000000053E0: D3CD00A4 0E92A140
	buffer_load_dwordx4 a[200:203], v30, s[20:23], 0 offen offset:2048// 0000000053E8: E05C1800 8085C81E
	v_mfma_f32_16x16x16_f16 v[164:167], a[66:67], v[82:83], v[164:167]// 0000000053F0: D3CD00A4 0E92A542
	v_mfma_f32_16x16x16_f16 v[164:167], a[68:69], v[84:85], v[164:167]// 0000000053F8: D3CD00A4 0E92A944
	s_add_u32 s16, s57, s16                                    // 000000005400: 80101039
	s_addc_u32 s17, 0, s17                                     // 000000005404: 82111180
	v_mfma_f32_16x16x16_f16 v[164:167], a[70:71], v[86:87], v[164:167]// 000000005408: D3CD00A4 0E92AD46
	v_mfma_f32_16x16x16_f16 v[164:167], a[72:73], v[88:89], v[164:167]// 000000005410: D3CD00A4 0E92B148
	buffer_load_dwordx4 a[204:207], v30, s[20:23], 0 offen offset:3072// 000000005418: E05C1C00 8085CC1E
	v_mfma_f32_16x16x16_f16 v[164:167], a[74:75], v[90:91], v[164:167]// 000000005420: D3CD00A4 0E92B54A
	v_mfma_f32_16x16x16_f16 v[164:167], a[76:77], v[92:93], v[164:167]// 000000005428: D3CD00A4 0E92B94C
	v_mfma_f32_16x16x16_f16 v[164:167], a[78:79], v[94:95], v[164:167]// 000000005430: D3CD00A4 0E92BD4E
	v_mfma_f32_16x16x16_f16 v[168:171], a[80:81], v[64:65], v[168:171]// 000000005438: D3CD00A8 0EA28150
	buffer_load_dwordx4 a[208:211], v31, s[20:23], 0 offen     // 000000005440: E05C1000 8085D01F
	v_mfma_f32_16x16x16_f16 v[168:171], a[82:83], v[66:67], v[168:171]// 000000005448: D3CD00A8 0EA28552
	v_mfma_f32_16x16x16_f16 v[168:171], a[84:85], v[68:69], v[168:171]// 000000005450: D3CD00A8 0EA28954
	v_mfma_f32_16x16x16_f16 v[168:171], a[86:87], v[70:71], v[168:171]// 000000005458: D3CD00A8 0EA28D56
	v_mfma_f32_16x16x16_f16 v[168:171], a[88:89], v[72:73], v[168:171]// 000000005460: D3CD00A8 0EA29158
	buffer_load_dwordx4 a[212:215], v31, s[20:23], 0 offen offset:1024// 000000005468: E05C1400 8085D41F
	v_mfma_f32_16x16x16_f16 v[168:171], a[90:91], v[74:75], v[168:171]// 000000005470: D3CD00A8 0EA2955A
	v_mfma_f32_16x16x16_f16 v[168:171], a[92:93], v[76:77], v[168:171]// 000000005478: D3CD00A8 0EA2995C
	v_mfma_f32_16x16x16_f16 v[168:171], a[94:95], v[78:79], v[168:171]// 000000005480: D3CD00A8 0EA29D5E
	v_mfma_f32_16x16x16_f16 v[172:175], a[80:81], v[80:81], v[172:175]// 000000005488: D3CD00AC 0EB2A150
	buffer_load_dwordx4 a[216:219], v31, s[20:23], 0 offen offset:2048// 000000005490: E05C1800 8085D81F
	v_mfma_f32_16x16x16_f16 v[172:175], a[82:83], v[82:83], v[172:175]// 000000005498: D3CD00AC 0EB2A552
	v_mfma_f32_16x16x16_f16 v[172:175], a[84:85], v[84:85], v[172:175]// 0000000054A0: D3CD00AC 0EB2A954
	v_mfma_f32_16x16x16_f16 v[172:175], a[86:87], v[86:87], v[172:175]// 0000000054A8: D3CD00AC 0EB2AD56
	v_mfma_f32_16x16x16_f16 v[172:175], a[88:89], v[88:89], v[172:175]// 0000000054B0: D3CD00AC 0EB2B158
	buffer_load_dwordx4 a[220:223], v31, s[20:23], 0 offen offset:3072// 0000000054B8: E05C1C00 8085DC1F
	v_mfma_f32_16x16x16_f16 v[172:175], a[90:91], v[90:91], v[172:175]// 0000000054C0: D3CD00AC 0EB2B55A
	v_mfma_f32_16x16x16_f16 v[172:175], a[92:93], v[92:93], v[172:175]// 0000000054C8: D3CD00AC 0EB2B95C
	v_mfma_f32_16x16x16_f16 v[172:175], a[94:95], v[94:95], v[172:175]// 0000000054D0: D3CD00AC 0EB2BD5E
	s_waitcnt vmcnt(32)                                        // 0000000054D8: BF8C8F70
	v_mfma_f32_16x16x16_f16 v[176:179], a[96:97], v[64:65], v[176:179]// 0000000054DC: D3CD00B0 0EC28160
	buffer_load_dwordx4 a[224:227], v32, s[20:23], 0 offen     // 0000000054E4: E05C1000 8085E020
	v_mfma_f32_16x16x16_f16 v[176:179], a[98:99], v[66:67], v[176:179]// 0000000054EC: D3CD00B0 0EC28562
	v_mfma_f32_16x16x16_f16 v[176:179], a[100:101], v[68:69], v[176:179]// 0000000054F4: D3CD00B0 0EC28964
	v_mfma_f32_16x16x16_f16 v[176:179], a[102:103], v[70:71], v[176:179]// 0000000054FC: D3CD00B0 0EC28D66
	v_mfma_f32_16x16x16_f16 v[176:179], a[104:105], v[72:73], v[176:179]// 000000005504: D3CD00B0 0EC29168
	buffer_load_dwordx4 a[228:231], v32, s[20:23], 0 offen offset:1024// 00000000550C: E05C1400 8085E420
	v_mfma_f32_16x16x16_f16 v[176:179], a[106:107], v[74:75], v[176:179]// 000000005514: D3CD00B0 0EC2956A
	v_mfma_f32_16x16x16_f16 v[176:179], a[108:109], v[76:77], v[176:179]// 00000000551C: D3CD00B0 0EC2996C
	v_mfma_f32_16x16x16_f16 v[176:179], a[110:111], v[78:79], v[176:179]// 000000005524: D3CD00B0 0EC29D6E
	v_mfma_f32_16x16x16_f16 v[180:183], a[96:97], v[80:81], v[180:183]// 00000000552C: D3CD00B4 0ED2A160
	buffer_load_dwordx4 a[232:235], v32, s[20:23], 0 offen offset:2048// 000000005534: E05C1800 8085E820
	v_mfma_f32_16x16x16_f16 v[180:183], a[98:99], v[82:83], v[180:183]// 00000000553C: D3CD00B4 0ED2A562
	v_mfma_f32_16x16x16_f16 v[180:183], a[100:101], v[84:85], v[180:183]// 000000005544: D3CD00B4 0ED2A964
	v_mfma_f32_16x16x16_f16 v[180:183], a[102:103], v[86:87], v[180:183]// 00000000554C: D3CD00B4 0ED2AD66
	v_mfma_f32_16x16x16_f16 v[180:183], a[104:105], v[88:89], v[180:183]// 000000005554: D3CD00B4 0ED2B168
	buffer_load_dwordx4 a[236:239], v32, s[20:23], 0 offen offset:3072// 00000000555C: E05C1C00 8085EC20
	v_mfma_f32_16x16x16_f16 v[180:183], a[106:107], v[90:91], v[180:183]// 000000005564: D3CD00B4 0ED2B56A
	v_mfma_f32_16x16x16_f16 v[180:183], a[108:109], v[92:93], v[180:183]// 00000000556C: D3CD00B4 0ED2B96C
	v_mfma_f32_16x16x16_f16 v[180:183], a[110:111], v[94:95], v[180:183]// 000000005574: D3CD00B4 0ED2BD6E
	v_mfma_f32_16x16x16_f16 v[184:187], a[112:113], v[64:65], v[184:187]// 00000000557C: D3CD00B8 0EE28170
	buffer_load_dwordx4 a[240:243], v33, s[20:23], 0 offen     // 000000005584: E05C1000 8085F021
	v_mfma_f32_16x16x16_f16 v[184:187], a[114:115], v[66:67], v[184:187]// 00000000558C: D3CD00B8 0EE28572
	v_mfma_f32_16x16x16_f16 v[184:187], a[116:117], v[68:69], v[184:187]// 000000005594: D3CD00B8 0EE28974
	v_mfma_f32_16x16x16_f16 v[184:187], a[118:119], v[70:71], v[184:187]// 00000000559C: D3CD00B8 0EE28D76
	v_mfma_f32_16x16x16_f16 v[184:187], a[120:121], v[72:73], v[184:187]// 0000000055A4: D3CD00B8 0EE29178
	buffer_load_dwordx4 a[244:247], v33, s[20:23], 0 offen offset:1024// 0000000055AC: E05C1400 8085F421
	v_mfma_f32_16x16x16_f16 v[184:187], a[122:123], v[74:75], v[184:187]// 0000000055B4: D3CD00B8 0EE2957A
	v_mfma_f32_16x16x16_f16 v[184:187], a[124:125], v[76:77], v[184:187]// 0000000055BC: D3CD00B8 0EE2997C
	v_mfma_f32_16x16x16_f16 v[184:187], a[126:127], v[78:79], v[184:187]// 0000000055C4: D3CD00B8 0EE29D7E
	v_mfma_f32_16x16x16_f16 v[188:191], a[112:113], v[80:81], v[188:191]// 0000000055CC: D3CD00BC 0EF2A170
	buffer_load_dwordx4 a[248:251], v33, s[20:23], 0 offen offset:2048// 0000000055D4: E05C1800 8085F821
	v_mfma_f32_16x16x16_f16 v[188:191], a[114:115], v[82:83], v[188:191]// 0000000055DC: D3CD00BC 0EF2A572
	v_mfma_f32_16x16x16_f16 v[188:191], a[116:117], v[84:85], v[188:191]// 0000000055E4: D3CD00BC 0EF2A974
	v_mfma_f32_16x16x16_f16 v[188:191], a[118:119], v[86:87], v[188:191]// 0000000055EC: D3CD00BC 0EF2AD76
	v_mfma_f32_16x16x16_f16 v[188:191], a[120:121], v[88:89], v[188:191]// 0000000055F4: D3CD00BC 0EF2B178
	buffer_load_dwordx4 a[252:255], v33, s[20:23], 0 offen offset:3072// 0000000055FC: E05C1C00 8085FC21
	v_mfma_f32_16x16x16_f16 v[188:191], a[122:123], v[90:91], v[188:191]// 000000005604: D3CD00BC 0EF2B57A
	v_mfma_f32_16x16x16_f16 v[188:191], a[124:125], v[92:93], v[188:191]// 00000000560C: D3CD00BC 0EF2B97C
	s_add_u32 s20, s58, s20                                    // 000000005614: 8014143A
	s_addc_u32 s21, 0, s21                                     // 000000005618: 82151580
	v_mfma_f32_16x16x16_f16 v[188:191], a[126:127], v[94:95], v[188:191]// 00000000561C: D3CD00BC 0EF2BD7E
	s_addk_i32 s80, 0x80                                       // 000000005624: B7500080
	s_cmp_lt_i32 s80, s81                                      // 000000005628: BF045150
	s_cbranch_scc0 label_11E2                                  // 00000000562C: BF840184
	s_waitcnt vmcnt(24) lgkmcnt(0)                             // 000000005630: BF8C4078
	s_barrier                                                  // 000000005634: BF8A0000
	v_mfma_f32_16x16x16_f16 v[128:131], a[128:129], v[96:97], v[128:131]// 000000005638: D3CD0080 0E02C180
	buffer_load_dwordx4 a[0:3], v26, s[20:23], 0 offen         // 000000005640: E05C1000 8085001A
	v_mfma_f32_16x16x16_f16 v[128:131], a[130:131], v[98:99], v[128:131]// 000000005648: D3CD0080 0E02C582
	v_mfma_f32_16x16x16_f16 v[128:131], a[132:133], v[100:101], v[128:131]// 000000005650: D3CD0080 0E02C984
	buffer_load_dword v10, s[16:19], 0 offen lds               // 000000005658: E0511000 8004000A
	s_add_u32 m0, 0x100, s37                                   // 000000005660: 807C25FF 00000100
	v_mfma_f32_16x16x16_f16 v[128:131], a[134:135], v[102:103], v[128:131]// 000000005668: D3CD0080 0E02CD86
	v_mfma_f32_16x16x16_f16 v[128:131], a[136:137], v[104:105], v[128:131]// 000000005670: D3CD0080 0E02D188
	buffer_load_dwordx4 a[4:7], v26, s[20:23], 0 offen offset:1024// 000000005678: E05C1400 8085041A
	v_mfma_f32_16x16x16_f16 v[128:131], a[138:139], v[106:107], v[128:131]// 000000005680: D3CD0080 0E02D58A
	v_mfma_f32_16x16x16_f16 v[128:131], a[140:141], v[108:109], v[128:131]// 000000005688: D3CD0080 0E02D98C
	buffer_load_dword v11, s[16:19], 0 offen lds               // 000000005690: E0511000 8004000B
	s_add_u32 m0, 0x200, s37                                   // 000000005698: 807C25FF 00000200
	v_mfma_f32_16x16x16_f16 v[128:131], a[142:143], v[110:111], v[128:131]// 0000000056A0: D3CD0080 0E02DD8E
	v_mfma_f32_16x16x16_f16 v[132:135], a[128:129], v[112:113], v[132:135]// 0000000056A8: D3CD0084 0E12E180
	buffer_load_dwordx4 a[8:11], v26, s[20:23], 0 offen offset:2048// 0000000056B0: E05C1800 8085081A
	v_mfma_f32_16x16x16_f16 v[132:135], a[130:131], v[114:115], v[132:135]// 0000000056B8: D3CD0084 0E12E582
	v_mfma_f32_16x16x16_f16 v[132:135], a[132:133], v[116:117], v[132:135]// 0000000056C0: D3CD0084 0E12E984
	buffer_load_dword v12, s[16:19], 0 offen lds               // 0000000056C8: E0511000 8004000C
	s_add_u32 m0, 0x300, s37                                   // 0000000056D0: 807C25FF 00000300
	v_mfma_f32_16x16x16_f16 v[132:135], a[134:135], v[118:119], v[132:135]// 0000000056D8: D3CD0084 0E12ED86
	v_mfma_f32_16x16x16_f16 v[132:135], a[136:137], v[120:121], v[132:135]// 0000000056E0: D3CD0084 0E12F188
	buffer_load_dwordx4 a[12:15], v26, s[20:23], 0 offen offset:3072// 0000000056E8: E05C1C00 80850C1A
	v_mfma_f32_16x16x16_f16 v[132:135], a[138:139], v[122:123], v[132:135]// 0000000056F0: D3CD0084 0E12F58A
	v_mfma_f32_16x16x16_f16 v[132:135], a[140:141], v[124:125], v[132:135]// 0000000056F8: D3CD0084 0E12F98C
	buffer_load_dword v13, s[16:19], 0 offen lds               // 000000005700: E0511000 8004000D
	s_add_u32 m0, 0x400, s37                                   // 000000005708: 807C25FF 00000400
	v_mfma_f32_16x16x16_f16 v[132:135], a[142:143], v[126:127], v[132:135]// 000000005710: D3CD0084 0E12FD8E
	v_mfma_f32_16x16x16_f16 v[136:139], a[144:145], v[96:97], v[136:139]// 000000005718: D3CD0088 0E22C190
	buffer_load_dwordx4 a[16:19], v27, s[20:23], 0 offen       // 000000005720: E05C1000 8085101B
	v_mfma_f32_16x16x16_f16 v[136:139], a[146:147], v[98:99], v[136:139]// 000000005728: D3CD0088 0E22C592
	v_mfma_f32_16x16x16_f16 v[136:139], a[148:149], v[100:101], v[136:139]// 000000005730: D3CD0088 0E22C994
	buffer_load_dword v14, s[16:19], 0 offen lds               // 000000005738: E0511000 8004000E
	s_add_u32 m0, 0x500, s37                                   // 000000005740: 807C25FF 00000500
	v_mfma_f32_16x16x16_f16 v[136:139], a[150:151], v[102:103], v[136:139]// 000000005748: D3CD0088 0E22CD96
	v_mfma_f32_16x16x16_f16 v[136:139], a[152:153], v[104:105], v[136:139]// 000000005750: D3CD0088 0E22D198
	buffer_load_dwordx4 a[20:23], v27, s[20:23], 0 offen offset:1024// 000000005758: E05C1400 8085141B
	v_mfma_f32_16x16x16_f16 v[136:139], a[154:155], v[106:107], v[136:139]// 000000005760: D3CD0088 0E22D59A
	v_mfma_f32_16x16x16_f16 v[136:139], a[156:157], v[108:109], v[136:139]// 000000005768: D3CD0088 0E22D99C
	buffer_load_dword v15, s[16:19], 0 offen lds               // 000000005770: E0511000 8004000F
	s_add_u32 m0, 0x600, s37                                   // 000000005778: 807C25FF 00000600
	v_mfma_f32_16x16x16_f16 v[136:139], a[158:159], v[110:111], v[136:139]// 000000005780: D3CD0088 0E22DD9E
	v_mfma_f32_16x16x16_f16 v[140:143], a[144:145], v[112:113], v[140:143]// 000000005788: D3CD008C 0E32E190
	buffer_load_dwordx4 a[24:27], v27, s[20:23], 0 offen offset:2048// 000000005790: E05C1800 8085181B
	v_mfma_f32_16x16x16_f16 v[140:143], a[146:147], v[114:115], v[140:143]// 000000005798: D3CD008C 0E32E592
	v_mfma_f32_16x16x16_f16 v[140:143], a[148:149], v[116:117], v[140:143]// 0000000057A0: D3CD008C 0E32E994
	buffer_load_dword v16, s[16:19], 0 offen lds               // 0000000057A8: E0511000 80040010
	s_add_u32 m0, 0x700, s37                                   // 0000000057B0: 807C25FF 00000700
	v_mfma_f32_16x16x16_f16 v[140:143], a[150:151], v[118:119], v[140:143]// 0000000057B8: D3CD008C 0E32ED96
	v_mfma_f32_16x16x16_f16 v[140:143], a[152:153], v[120:121], v[140:143]// 0000000057C0: D3CD008C 0E32F198
	buffer_load_dwordx4 a[28:31], v27, s[20:23], 0 offen offset:3072// 0000000057C8: E05C1C00 80851C1B
	v_mfma_f32_16x16x16_f16 v[140:143], a[154:155], v[122:123], v[140:143]// 0000000057D0: D3CD008C 0E32F59A
	v_mfma_f32_16x16x16_f16 v[140:143], a[156:157], v[124:125], v[140:143]// 0000000057D8: D3CD008C 0E32F99C
	buffer_load_dword v17, s[16:19], 0 offen lds               // 0000000057E0: E0511000 80040011
	s_add_u32 m0, 0, s36                                       // 0000000057E8: 807C2480
	v_mfma_f32_16x16x16_f16 v[140:143], a[158:159], v[126:127], v[140:143]// 0000000057EC: D3CD008C 0E32FD9E
	s_waitcnt vmcnt(32)                                        // 0000000057F4: BF8C8F70
	v_mfma_f32_16x16x16_f16 v[144:147], a[160:161], v[96:97], v[144:147]// 0000000057F8: D3CD0090 0E42C1A0
	buffer_load_dwordx4 a[32:35], v28, s[20:23], 0 offen       // 000000005800: E05C1000 8085201C
	v_mfma_f32_16x16x16_f16 v[144:147], a[162:163], v[98:99], v[144:147]// 000000005808: D3CD0090 0E42C5A2
	v_mfma_f32_16x16x16_f16 v[144:147], a[164:165], v[100:101], v[144:147]// 000000005810: D3CD0090 0E42C9A4
	ds_read_b128 v[64:67], v2                                  // 000000005818: D9FE0000 40000002
	v_mfma_f32_16x16x16_f16 v[144:147], a[166:167], v[102:103], v[144:147]// 000000005820: D3CD0090 0E42CDA6
	v_mfma_f32_16x16x16_f16 v[144:147], a[168:169], v[104:105], v[144:147]// 000000005828: D3CD0090 0E42D1A8
	buffer_load_dwordx4 a[36:39], v28, s[20:23], 0 offen offset:1024// 000000005830: E05C1400 8085241C
	v_mfma_f32_16x16x16_f16 v[144:147], a[170:171], v[106:107], v[144:147]// 000000005838: D3CD0090 0E42D5AA
	v_mfma_f32_16x16x16_f16 v[144:147], a[172:173], v[108:109], v[144:147]// 000000005840: D3CD0090 0E42D9AC
	ds_read_b128 v[68:71], v2 offset:64                        // 000000005848: D9FE0040 44000002
	v_mfma_f32_16x16x16_f16 v[144:147], a[174:175], v[110:111], v[144:147]// 000000005850: D3CD0090 0E42DDAE
	v_mfma_f32_16x16x16_f16 v[148:151], a[160:161], v[112:113], v[148:151]// 000000005858: D3CD0094 0E52E1A0
	buffer_load_dwordx4 a[40:43], v28, s[20:23], 0 offen offset:2048// 000000005860: E05C1800 8085281C
	v_mfma_f32_16x16x16_f16 v[148:151], a[162:163], v[114:115], v[148:151]// 000000005868: D3CD0094 0E52E5A2
	v_mfma_f32_16x16x16_f16 v[148:151], a[164:165], v[116:117], v[148:151]// 000000005870: D3CD0094 0E52E9A4
	ds_read_b128 v[72:75], v2 offset:128                       // 000000005878: D9FE0080 48000002
	v_mfma_f32_16x16x16_f16 v[148:151], a[166:167], v[118:119], v[148:151]// 000000005880: D3CD0094 0E52EDA6
	v_mfma_f32_16x16x16_f16 v[148:151], a[168:169], v[120:121], v[148:151]// 000000005888: D3CD0094 0E52F1A8
	buffer_load_dwordx4 a[44:47], v28, s[20:23], 0 offen offset:3072// 000000005890: E05C1C00 80852C1C
	v_mfma_f32_16x16x16_f16 v[148:151], a[170:171], v[122:123], v[148:151]// 000000005898: D3CD0094 0E52F5AA
	v_mfma_f32_16x16x16_f16 v[148:151], a[172:173], v[124:125], v[148:151]// 0000000058A0: D3CD0094 0E52F9AC
	ds_read_b128 v[76:79], v2 offset:192                       // 0000000058A8: D9FE00C0 4C000002
	v_mfma_f32_16x16x16_f16 v[148:151], a[174:175], v[126:127], v[148:151]// 0000000058B0: D3CD0094 0E52FDAE
	v_mfma_f32_16x16x16_f16 v[152:155], a[176:177], v[96:97], v[152:155]// 0000000058B8: D3CD0098 0E62C1B0
	buffer_load_dwordx4 a[48:51], v29, s[20:23], 0 offen       // 0000000058C0: E05C1000 8085301D
	v_mfma_f32_16x16x16_f16 v[152:155], a[178:179], v[98:99], v[152:155]// 0000000058C8: D3CD0098 0E62C5B2
	v_mfma_f32_16x16x16_f16 v[152:155], a[180:181], v[100:101], v[152:155]// 0000000058D0: D3CD0098 0E62C9B4
	ds_read_b128 v[80:83], v2 offset:1024                      // 0000000058D8: D9FE0400 50000002
	v_mfma_f32_16x16x16_f16 v[152:155], a[182:183], v[102:103], v[152:155]// 0000000058E0: D3CD0098 0E62CDB6
	v_mfma_f32_16x16x16_f16 v[152:155], a[184:185], v[104:105], v[152:155]// 0000000058E8: D3CD0098 0E62D1B8
	buffer_load_dwordx4 a[52:55], v29, s[20:23], 0 offen offset:1024// 0000000058F0: E05C1400 8085341D
	v_mfma_f32_16x16x16_f16 v[152:155], a[186:187], v[106:107], v[152:155]// 0000000058F8: D3CD0098 0E62D5BA
	v_mfma_f32_16x16x16_f16 v[152:155], a[188:189], v[108:109], v[152:155]// 000000005900: D3CD0098 0E62D9BC
	ds_read_b128 v[84:87], v2 offset:1088                      // 000000005908: D9FE0440 54000002
	v_mfma_f32_16x16x16_f16 v[152:155], a[190:191], v[110:111], v[152:155]// 000000005910: D3CD0098 0E62DDBE
	v_mfma_f32_16x16x16_f16 v[156:159], a[176:177], v[112:113], v[156:159]// 000000005918: D3CD009C 0E72E1B0
	buffer_load_dwordx4 a[56:59], v29, s[20:23], 0 offen offset:2048// 000000005920: E05C1800 8085381D
	v_mfma_f32_16x16x16_f16 v[156:159], a[178:179], v[114:115], v[156:159]// 000000005928: D3CD009C 0E72E5B2
	v_mfma_f32_16x16x16_f16 v[156:159], a[180:181], v[116:117], v[156:159]// 000000005930: D3CD009C 0E72E9B4
	ds_read_b128 v[88:91], v2 offset:1152                      // 000000005938: D9FE0480 58000002
	v_mfma_f32_16x16x16_f16 v[156:159], a[182:183], v[118:119], v[156:159]// 000000005940: D3CD009C 0E72EDB6
	v_mfma_f32_16x16x16_f16 v[156:159], a[184:185], v[120:121], v[156:159]// 000000005948: D3CD009C 0E72F1B8
	buffer_load_dwordx4 a[60:63], v29, s[20:23], 0 offen offset:3072// 000000005950: E05C1C00 80853C1D
	v_mfma_f32_16x16x16_f16 v[156:159], a[186:187], v[122:123], v[156:159]// 000000005958: D3CD009C 0E72F5BA
	v_mfma_f32_16x16x16_f16 v[156:159], a[188:189], v[124:125], v[156:159]// 000000005960: D3CD009C 0E72F9BC
	ds_read_b128 v[92:95], v2 offset:1216                      // 000000005968: D9FE04C0 5C000002
	v_mfma_f32_16x16x16_f16 v[156:159], a[190:191], v[126:127], v[156:159]// 000000005970: D3CD009C 0E72FDBE
	s_waitcnt vmcnt(32)                                        // 000000005978: BF8C8F70
	v_mfma_f32_16x16x16_f16 v[160:163], a[192:193], v[96:97], v[160:163]// 00000000597C: D3CD00A0 0E82C1C0
	buffer_load_dwordx4 a[64:67], v30, s[20:23], 0 offen       // 000000005984: E05C1000 8085401E
	v_mfma_f32_16x16x16_f16 v[160:163], a[194:195], v[98:99], v[160:163]// 00000000598C: D3CD00A0 0E82C5C2
	v_mfma_f32_16x16x16_f16 v[160:163], a[196:197], v[100:101], v[160:163]// 000000005994: D3CD00A0 0E82C9C4
	s_add_u32 s60, 0x180, s80                                  // 00000000599C: 803C50FF 00000180
	s_cmp_lt_u32 s60, s81                                      // 0000000059A4: BF0A513C
	s_cselect_b32 s57, s57, 0                                  // 0000000059A8: 85398039
	v_mfma_f32_16x16x16_f16 v[160:163], a[198:199], v[102:103], v[160:163]// 0000000059AC: D3CD00A0 0E82CDC6
	v_mfma_f32_16x16x16_f16 v[160:163], a[200:201], v[104:105], v[160:163]// 0000000059B4: D3CD00A0 0E82D1C8
	buffer_load_dwordx4 a[68:71], v30, s[20:23], 0 offen offset:1024// 0000000059BC: E05C1400 8085441E
	v_mfma_f32_16x16x16_f16 v[160:163], a[202:203], v[106:107], v[160:163]// 0000000059C4: D3CD00A0 0E82D5CA
	v_mfma_f32_16x16x16_f16 v[160:163], a[204:205], v[108:109], v[160:163]// 0000000059CC: D3CD00A0 0E82D9CC
	s_add_u32 s60, 0x100, s80                                  // 0000000059D4: 803C50FF 00000100
	s_cmp_lt_u32 s60, s81                                      // 0000000059DC: BF0A513C
	s_cselect_b32 s58, s58, 0                                  // 0000000059E0: 853A803A
	v_mfma_f32_16x16x16_f16 v[160:163], a[206:207], v[110:111], v[160:163]// 0000000059E4: D3CD00A0 0E82DDCE
	v_mfma_f32_16x16x16_f16 v[164:167], a[192:193], v[112:113], v[164:167]// 0000000059EC: D3CD00A4 0E92E1C0
	buffer_load_dwordx4 a[72:75], v30, s[20:23], 0 offen offset:2048// 0000000059F4: E05C1800 8085481E
	v_mfma_f32_16x16x16_f16 v[164:167], a[194:195], v[114:115], v[164:167]// 0000000059FC: D3CD00A4 0E92E5C2
	v_mfma_f32_16x16x16_f16 v[164:167], a[196:197], v[116:117], v[164:167]// 000000005A04: D3CD00A4 0E92E9C4
	s_add_u32 s16, s57, s16                                    // 000000005A0C: 80101039
	s_addc_u32 s17, 0, s17                                     // 000000005A10: 82111180
	v_mfma_f32_16x16x16_f16 v[164:167], a[198:199], v[118:119], v[164:167]// 000000005A14: D3CD00A4 0E92EDC6
	v_mfma_f32_16x16x16_f16 v[164:167], a[200:201], v[120:121], v[164:167]// 000000005A1C: D3CD00A4 0E92F1C8
	buffer_load_dwordx4 a[76:79], v30, s[20:23], 0 offen offset:3072// 000000005A24: E05C1C00 80854C1E
	v_mfma_f32_16x16x16_f16 v[164:167], a[202:203], v[122:123], v[164:167]// 000000005A2C: D3CD00A4 0E92F5CA
	v_mfma_f32_16x16x16_f16 v[164:167], a[204:205], v[124:125], v[164:167]// 000000005A34: D3CD00A4 0E92F9CC
	v_mfma_f32_16x16x16_f16 v[164:167], a[206:207], v[126:127], v[164:167]// 000000005A3C: D3CD00A4 0E92FDCE
	v_mfma_f32_16x16x16_f16 v[168:171], a[208:209], v[96:97], v[168:171]// 000000005A44: D3CD00A8 0EA2C1D0
	buffer_load_dwordx4 a[80:83], v31, s[20:23], 0 offen       // 000000005A4C: E05C1000 8085501F
	v_mfma_f32_16x16x16_f16 v[168:171], a[210:211], v[98:99], v[168:171]// 000000005A54: D3CD00A8 0EA2C5D2
	v_mfma_f32_16x16x16_f16 v[168:171], a[212:213], v[100:101], v[168:171]// 000000005A5C: D3CD00A8 0EA2C9D4
	v_mfma_f32_16x16x16_f16 v[168:171], a[214:215], v[102:103], v[168:171]// 000000005A64: D3CD00A8 0EA2CDD6
	v_mfma_f32_16x16x16_f16 v[168:171], a[216:217], v[104:105], v[168:171]// 000000005A6C: D3CD00A8 0EA2D1D8
	buffer_load_dwordx4 a[84:87], v31, s[20:23], 0 offen offset:1024// 000000005A74: E05C1400 8085541F
	v_mfma_f32_16x16x16_f16 v[168:171], a[218:219], v[106:107], v[168:171]// 000000005A7C: D3CD00A8 0EA2D5DA
	v_mfma_f32_16x16x16_f16 v[168:171], a[220:221], v[108:109], v[168:171]// 000000005A84: D3CD00A8 0EA2D9DC
	v_mfma_f32_16x16x16_f16 v[168:171], a[222:223], v[110:111], v[168:171]// 000000005A8C: D3CD00A8 0EA2DDDE
	v_mfma_f32_16x16x16_f16 v[172:175], a[208:209], v[112:113], v[172:175]// 000000005A94: D3CD00AC 0EB2E1D0
	buffer_load_dwordx4 a[88:91], v31, s[20:23], 0 offen offset:2048// 000000005A9C: E05C1800 8085581F
	v_mfma_f32_16x16x16_f16 v[172:175], a[210:211], v[114:115], v[172:175]// 000000005AA4: D3CD00AC 0EB2E5D2
	v_mfma_f32_16x16x16_f16 v[172:175], a[212:213], v[116:117], v[172:175]// 000000005AAC: D3CD00AC 0EB2E9D4
	v_mfma_f32_16x16x16_f16 v[172:175], a[214:215], v[118:119], v[172:175]// 000000005AB4: D3CD00AC 0EB2EDD6
	v_mfma_f32_16x16x16_f16 v[172:175], a[216:217], v[120:121], v[172:175]// 000000005ABC: D3CD00AC 0EB2F1D8
	buffer_load_dwordx4 a[92:95], v31, s[20:23], 0 offen offset:3072// 000000005AC4: E05C1C00 80855C1F
	v_mfma_f32_16x16x16_f16 v[172:175], a[218:219], v[122:123], v[172:175]// 000000005ACC: D3CD00AC 0EB2F5DA
	v_mfma_f32_16x16x16_f16 v[172:175], a[220:221], v[124:125], v[172:175]// 000000005AD4: D3CD00AC 0EB2F9DC
	v_mfma_f32_16x16x16_f16 v[172:175], a[222:223], v[126:127], v[172:175]// 000000005ADC: D3CD00AC 0EB2FDDE
	s_waitcnt vmcnt(32)                                        // 000000005AE4: BF8C8F70
	v_mfma_f32_16x16x16_f16 v[176:179], a[224:225], v[96:97], v[176:179]// 000000005AE8: D3CD00B0 0EC2C1E0
	buffer_load_dwordx4 a[96:99], v32, s[20:23], 0 offen       // 000000005AF0: E05C1000 80856020
	v_mfma_f32_16x16x16_f16 v[176:179], a[226:227], v[98:99], v[176:179]// 000000005AF8: D3CD00B0 0EC2C5E2
	v_mfma_f32_16x16x16_f16 v[176:179], a[228:229], v[100:101], v[176:179]// 000000005B00: D3CD00B0 0EC2C9E4
	v_mfma_f32_16x16x16_f16 v[176:179], a[230:231], v[102:103], v[176:179]// 000000005B08: D3CD00B0 0EC2CDE6
	v_mfma_f32_16x16x16_f16 v[176:179], a[232:233], v[104:105], v[176:179]// 000000005B10: D3CD00B0 0EC2D1E8
	buffer_load_dwordx4 a[100:103], v32, s[20:23], 0 offen offset:1024// 000000005B18: E05C1400 80856420
	v_mfma_f32_16x16x16_f16 v[176:179], a[234:235], v[106:107], v[176:179]// 000000005B20: D3CD00B0 0EC2D5EA
	v_mfma_f32_16x16x16_f16 v[176:179], a[236:237], v[108:109], v[176:179]// 000000005B28: D3CD00B0 0EC2D9EC
	v_mfma_f32_16x16x16_f16 v[176:179], a[238:239], v[110:111], v[176:179]// 000000005B30: D3CD00B0 0EC2DDEE
	v_mfma_f32_16x16x16_f16 v[180:183], a[224:225], v[112:113], v[180:183]// 000000005B38: D3CD00B4 0ED2E1E0
	buffer_load_dwordx4 a[104:107], v32, s[20:23], 0 offen offset:2048// 000000005B40: E05C1800 80856820
	v_mfma_f32_16x16x16_f16 v[180:183], a[226:227], v[114:115], v[180:183]// 000000005B48: D3CD00B4 0ED2E5E2
	v_mfma_f32_16x16x16_f16 v[180:183], a[228:229], v[116:117], v[180:183]// 000000005B50: D3CD00B4 0ED2E9E4
	v_mfma_f32_16x16x16_f16 v[180:183], a[230:231], v[118:119], v[180:183]// 000000005B58: D3CD00B4 0ED2EDE6
	v_mfma_f32_16x16x16_f16 v[180:183], a[232:233], v[120:121], v[180:183]// 000000005B60: D3CD00B4 0ED2F1E8
	buffer_load_dwordx4 a[108:111], v32, s[20:23], 0 offen offset:3072// 000000005B68: E05C1C00 80856C20
	v_mfma_f32_16x16x16_f16 v[180:183], a[234:235], v[122:123], v[180:183]// 000000005B70: D3CD00B4 0ED2F5EA
	v_mfma_f32_16x16x16_f16 v[180:183], a[236:237], v[124:125], v[180:183]// 000000005B78: D3CD00B4 0ED2F9EC
	v_mfma_f32_16x16x16_f16 v[180:183], a[238:239], v[126:127], v[180:183]// 000000005B80: D3CD00B4 0ED2FDEE
	v_mfma_f32_16x16x16_f16 v[184:187], a[240:241], v[96:97], v[184:187]// 000000005B88: D3CD00B8 0EE2C1F0
	buffer_load_dwordx4 a[112:115], v33, s[20:23], 0 offen     // 000000005B90: E05C1000 80857021
	v_mfma_f32_16x16x16_f16 v[184:187], a[242:243], v[98:99], v[184:187]// 000000005B98: D3CD00B8 0EE2C5F2
	v_mfma_f32_16x16x16_f16 v[184:187], a[244:245], v[100:101], v[184:187]// 000000005BA0: D3CD00B8 0EE2C9F4
	v_mfma_f32_16x16x16_f16 v[184:187], a[246:247], v[102:103], v[184:187]// 000000005BA8: D3CD00B8 0EE2CDF6
	v_mfma_f32_16x16x16_f16 v[184:187], a[248:249], v[104:105], v[184:187]// 000000005BB0: D3CD00B8 0EE2D1F8
	buffer_load_dwordx4 a[116:119], v33, s[20:23], 0 offen offset:1024// 000000005BB8: E05C1400 80857421
	v_mfma_f32_16x16x16_f16 v[184:187], a[250:251], v[106:107], v[184:187]// 000000005BC0: D3CD00B8 0EE2D5FA
	v_mfma_f32_16x16x16_f16 v[184:187], a[252:253], v[108:109], v[184:187]// 000000005BC8: D3CD00B8 0EE2D9FC
	v_mfma_f32_16x16x16_f16 v[184:187], a[254:255], v[110:111], v[184:187]// 000000005BD0: D3CD00B8 0EE2DDFE
	v_mfma_f32_16x16x16_f16 v[188:191], a[240:241], v[112:113], v[188:191]// 000000005BD8: D3CD00BC 0EF2E1F0
	buffer_load_dwordx4 a[120:123], v33, s[20:23], 0 offen offset:2048// 000000005BE0: E05C1800 80857821
	v_mfma_f32_16x16x16_f16 v[188:191], a[242:243], v[114:115], v[188:191]// 000000005BE8: D3CD00BC 0EF2E5F2
	v_mfma_f32_16x16x16_f16 v[188:191], a[244:245], v[116:117], v[188:191]// 000000005BF0: D3CD00BC 0EF2E9F4
	v_mfma_f32_16x16x16_f16 v[188:191], a[246:247], v[118:119], v[188:191]// 000000005BF8: D3CD00BC 0EF2EDF6
	v_mfma_f32_16x16x16_f16 v[188:191], a[248:249], v[120:121], v[188:191]// 000000005C00: D3CD00BC 0EF2F1F8
	buffer_load_dwordx4 a[124:127], v33, s[20:23], 0 offen offset:3072// 000000005C08: E05C1C00 80857C21
	v_mfma_f32_16x16x16_f16 v[188:191], a[250:251], v[122:123], v[188:191]// 000000005C10: D3CD00BC 0EF2F5FA
	v_mfma_f32_16x16x16_f16 v[188:191], a[252:253], v[124:125], v[188:191]// 000000005C18: D3CD00BC 0EF2F9FC
	s_add_u32 s20, s58, s20                                    // 000000005C20: 8014143A
	s_addc_u32 s21, 0, s21                                     // 000000005C24: 82151580
	v_mfma_f32_16x16x16_f16 v[188:191], a[254:255], v[126:127], v[188:191]// 000000005C28: D3CD00BC 0EF2FDFE
	s_addk_i32 s80, 0x80                                       // 000000005C30: B7500080
	s_cmp_lt_i32 s80, s81                                      // 000000005C34: BF045150
	s_cbranch_scc0 label_11E2                                  // 000000005C38: BF840001
	s_branch label_0EDB                                        // 000000005C3C: BF82FCF9

0000000000005c40 <label_11E2>:
	s_mov_b32 s38, -1                                          // 000000005C40: BEA600C1
	s_mov_b32 s39, -1                                          // 000000005C44: BEA700C1
	s_mov_b64 s[60:61], 0                                      // 000000005C48: BEBC0180
	s_cmp_lt_u32 s82, s66                                      // 000000005C4C: BF0A4252
	s_cselect_b64 s[16:17], s[38:39], s[60:61]                 // 000000005C50: 85903C26
	s_cmp_lt_u32 s83, s66                                      // 000000005C54: BF0A4253
	s_cselect_b64 s[18:19], s[38:39], s[60:61]                 // 000000005C58: 85923C26
	s_cmp_lt_u32 s84, s66                                      // 000000005C5C: BF0A4254
	s_cselect_b64 s[20:21], s[38:39], s[60:61]                 // 000000005C60: 85943C26
	s_cmp_lt_u32 s85, s66                                      // 000000005C64: BF0A4255
	s_cselect_b64 s[22:23], s[38:39], s[60:61]                 // 000000005C68: 85963C26
	s_cmp_lt_u32 s86, s66                                      // 000000005C6C: BF0A4256
	s_cselect_b64 s[24:25], s[38:39], s[60:61]                 // 000000005C70: 85983C26
	s_cmp_lt_u32 s87, s66                                      // 000000005C74: BF0A4257
	s_cselect_b64 s[26:27], s[38:39], s[60:61]                 // 000000005C78: 859A3C26
	s_cmp_lt_u32 s88, s66                                      // 000000005C7C: BF0A4258
	s_cselect_b64 s[28:29], s[38:39], s[60:61]                 // 000000005C80: 859C3C26
	s_cmp_lt_u32 s52, s66                                      // 000000005C84: BF0A4234
	s_cselect_b64 s[30:31], s[38:39], s[60:61]                 // 000000005C88: 859E3C26
	s_waitcnt vmcnt(24)                                        // 000000005C8C: BF8C4F78
	buffer_load_dwordx4 a[0:3], v18, s[12:15], 0 offen         // 000000005C90: E05C1000 80830012
	v_mul_f32_e32 v54, v128, v128                              // 000000005C98: 0A6D0180
	v_mul_f32_e32 v55, v129, v129                              // 000000005C9C: 0A6F0381
	v_mul_f32_e32 v56, v130, v130                              // 000000005CA0: 0A710582
	v_mul_f32_e32 v57, v131, v131                              // 000000005CA4: 0A730783
	v_fma_f32 v54, v54, s77, v5                                // 000000005CA8: D1CB0036 04149B36
	v_fma_f32 v55, v55, s77, v5                                // 000000005CB0: D1CB0037 04149B37
	v_fma_f32 v56, v56, s77, v5                                // 000000005CB8: D1CB0038 04149B38
	v_fma_f32 v57, v57, s77, v5                                // 000000005CC0: D1CB0039 04149B39
	v_mul_f32_e32 v54, v54, v128                               // 000000005CC8: 0A6D0136
	v_mul_f32_e32 v55, v55, v129                               // 000000005CCC: 0A6F0337
	v_mul_f32_e32 v56, v56, v130                               // 000000005CD0: 0A710538
	v_mul_f32_e32 v57, v57, v131                               // 000000005CD4: 0A730739
	v_mul_f32_e64 v54, v54, s6                                 // 000000005CD8: D1050036 00000D36
	v_mul_f32_e64 v55, v55, s6                                 // 000000005CE0: D1050037 00000D37
	v_mul_f32_e64 v56, v56, s6                                 // 000000005CE8: D1050038 00000D38
	v_mul_f32_e64 v57, v57, s6                                 // 000000005CF0: D1050039 00000D39
	v_exp_f32_e32 v54, v54                                     // 000000005CF8: 7E6C4136
	v_exp_f32_e32 v55, v55                                     // 000000005CFC: 7E6E4137
	v_exp_f32_e32 v56, v56                                     // 000000005D00: 7E704138
	buffer_load_dwordx4 a[4:7], v18, s[12:15], 0 offen offset:1024// 000000005D04: E05C1400 80830412
	v_exp_f32_e32 v57, v57                                     // 000000005D0C: 7E724139
	v_add_f32_e64 v54, v54, 1.0                                // 000000005D10: D1010036 0001E536
	v_add_f32_e64 v55, v55, 1.0                                // 000000005D18: D1010037 0001E537
	v_add_f32_e64 v56, v56, 1.0                                // 000000005D20: D1010038 0001E538
	v_add_f32_e64 v57, v57, 1.0                                // 000000005D28: D1010039 0001E539
	v_rcp_f32_e32 v54, v54                                     // 000000005D30: 7E6C4536
	v_rcp_f32_e32 v55, v55                                     // 000000005D34: 7E6E4537
	v_rcp_f32_e32 v56, v56                                     // 000000005D38: 7E704538
	v_rcp_f32_e32 v57, v57                                     // 000000005D3C: 7E724539
	v_mul_f32_e32 v128, v128, v54                              // 000000005D40: 0B006D80
	v_mul_f32_e32 v129, v129, v55                              // 000000005D44: 0B026F81
	v_mul_f32_e32 v130, v130, v56                              // 000000005D48: 0B047182
	v_mul_f32_e32 v131, v131, v57                              // 000000005D4C: 0B067383
	buffer_load_dwordx4 a[8:11], v18, s[12:15], 0 offen offset:2048// 000000005D50: E05C1800 80830812
	v_mul_f32_e32 v54, v132, v132                              // 000000005D58: 0A6D0984
	v_mul_f32_e32 v55, v133, v133                              // 000000005D5C: 0A6F0B85
	v_mul_f32_e32 v56, v134, v134                              // 000000005D60: 0A710D86
	v_mul_f32_e32 v57, v135, v135                              // 000000005D64: 0A730F87
	v_fma_f32 v54, v54, s77, v5                                // 000000005D68: D1CB0036 04149B36
	v_fma_f32 v55, v55, s77, v5                                // 000000005D70: D1CB0037 04149B37
	v_fma_f32 v56, v56, s77, v5                                // 000000005D78: D1CB0038 04149B38
	v_fma_f32 v57, v57, s77, v5                                // 000000005D80: D1CB0039 04149B39
	v_mul_f32_e32 v54, v54, v132                               // 000000005D88: 0A6D0936
	v_mul_f32_e32 v55, v55, v133                               // 000000005D8C: 0A6F0B37
	v_mul_f32_e32 v56, v56, v134                               // 000000005D90: 0A710D38
	v_mul_f32_e32 v57, v57, v135                               // 000000005D94: 0A730F39
	v_mul_f32_e64 v54, v54, s6                                 // 000000005D98: D1050036 00000D36
	v_mul_f32_e64 v55, v55, s6                                 // 000000005DA0: D1050037 00000D37
	v_mul_f32_e64 v56, v56, s6                                 // 000000005DA8: D1050038 00000D38
	v_mul_f32_e64 v57, v57, s6                                 // 000000005DB0: D1050039 00000D39
	v_exp_f32_e32 v54, v54                                     // 000000005DB8: 7E6C4136
	v_exp_f32_e32 v55, v55                                     // 000000005DBC: 7E6E4137
	v_exp_f32_e32 v56, v56                                     // 000000005DC0: 7E704138
	buffer_load_dwordx4 a[12:15], v18, s[12:15], 0 offen offset:3072// 000000005DC4: E05C1C00 80830C12
	v_exp_f32_e32 v57, v57                                     // 000000005DCC: 7E724139
	v_add_f32_e64 v54, v54, 1.0                                // 000000005DD0: D1010036 0001E536
	v_add_f32_e64 v55, v55, 1.0                                // 000000005DD8: D1010037 0001E537
	v_add_f32_e64 v56, v56, 1.0                                // 000000005DE0: D1010038 0001E538
	v_add_f32_e64 v57, v57, 1.0                                // 000000005DE8: D1010039 0001E539
	v_rcp_f32_e32 v54, v54                                     // 000000005DF0: 7E6C4536
	v_rcp_f32_e32 v55, v55                                     // 000000005DF4: 7E6E4537
	v_rcp_f32_e32 v56, v56                                     // 000000005DF8: 7E704538
	v_rcp_f32_e32 v57, v57                                     // 000000005DFC: 7E724539
	v_mul_f32_e32 v132, v132, v54                              // 000000005E00: 0B086D84
	v_mul_f32_e32 v133, v133, v55                              // 000000005E04: 0B0A6F85
	v_mul_f32_e32 v134, v134, v56                              // 000000005E08: 0B0C7186
	v_mul_f32_e32 v135, v135, v57                              // 000000005E0C: 0B0E7387
	buffer_load_dwordx4 a[16:19], v19, s[12:15], 0 offen       // 000000005E10: E05C1000 80831013
	v_mul_f32_e32 v54, v136, v136                              // 000000005E18: 0A6D1188
	v_mul_f32_e32 v55, v137, v137                              // 000000005E1C: 0A6F1389
	v_mul_f32_e32 v56, v138, v138                              // 000000005E20: 0A71158A
	v_mul_f32_e32 v57, v139, v139                              // 000000005E24: 0A73178B
	v_fma_f32 v54, v54, s77, v5                                // 000000005E28: D1CB0036 04149B36
	v_fma_f32 v55, v55, s77, v5                                // 000000005E30: D1CB0037 04149B37
	v_fma_f32 v56, v56, s77, v5                                // 000000005E38: D1CB0038 04149B38
	v_fma_f32 v57, v57, s77, v5                                // 000000005E40: D1CB0039 04149B39
	v_mul_f32_e32 v54, v54, v136                               // 000000005E48: 0A6D1136
	v_mul_f32_e32 v55, v55, v137                               // 000000005E4C: 0A6F1337
	v_mul_f32_e32 v56, v56, v138                               // 000000005E50: 0A711538
	v_mul_f32_e32 v57, v57, v139                               // 000000005E54: 0A731739
	v_mul_f32_e64 v54, v54, s6                                 // 000000005E58: D1050036 00000D36
	v_mul_f32_e64 v55, v55, s6                                 // 000000005E60: D1050037 00000D37
	v_mul_f32_e64 v56, v56, s6                                 // 000000005E68: D1050038 00000D38
	v_mul_f32_e64 v57, v57, s6                                 // 000000005E70: D1050039 00000D39
	v_exp_f32_e32 v54, v54                                     // 000000005E78: 7E6C4136
	v_exp_f32_e32 v55, v55                                     // 000000005E7C: 7E6E4137
	v_exp_f32_e32 v56, v56                                     // 000000005E80: 7E704138
	buffer_load_dwordx4 a[20:23], v19, s[12:15], 0 offen offset:1024// 000000005E84: E05C1400 80831413
	v_exp_f32_e32 v57, v57                                     // 000000005E8C: 7E724139
	v_add_f32_e64 v54, v54, 1.0                                // 000000005E90: D1010036 0001E536
	v_add_f32_e64 v55, v55, 1.0                                // 000000005E98: D1010037 0001E537
	v_add_f32_e64 v56, v56, 1.0                                // 000000005EA0: D1010038 0001E538
	v_add_f32_e64 v57, v57, 1.0                                // 000000005EA8: D1010039 0001E539
	v_rcp_f32_e32 v54, v54                                     // 000000005EB0: 7E6C4536
	v_rcp_f32_e32 v55, v55                                     // 000000005EB4: 7E6E4537
	v_rcp_f32_e32 v56, v56                                     // 000000005EB8: 7E704538
	v_rcp_f32_e32 v57, v57                                     // 000000005EBC: 7E724539
	v_mul_f32_e32 v136, v136, v54                              // 000000005EC0: 0B106D88
	v_mul_f32_e32 v137, v137, v55                              // 000000005EC4: 0B126F89
	v_mul_f32_e32 v138, v138, v56                              // 000000005EC8: 0B14718A
	v_mul_f32_e32 v139, v139, v57                              // 000000005ECC: 0B16738B
	buffer_load_dwordx4 a[24:27], v19, s[12:15], 0 offen offset:2048// 000000005ED0: E05C1800 80831813
	v_mul_f32_e32 v54, v140, v140                              // 000000005ED8: 0A6D198C
	v_mul_f32_e32 v55, v141, v141                              // 000000005EDC: 0A6F1B8D
	v_mul_f32_e32 v56, v142, v142                              // 000000005EE0: 0A711D8E
	v_mul_f32_e32 v57, v143, v143                              // 000000005EE4: 0A731F8F
	v_fma_f32 v54, v54, s77, v5                                // 000000005EE8: D1CB0036 04149B36
	v_fma_f32 v55, v55, s77, v5                                // 000000005EF0: D1CB0037 04149B37
	v_fma_f32 v56, v56, s77, v5                                // 000000005EF8: D1CB0038 04149B38
	v_fma_f32 v57, v57, s77, v5                                // 000000005F00: D1CB0039 04149B39
	v_mul_f32_e32 v54, v54, v140                               // 000000005F08: 0A6D1936
	v_mul_f32_e32 v55, v55, v141                               // 000000005F0C: 0A6F1B37
	v_mul_f32_e32 v56, v56, v142                               // 000000005F10: 0A711D38
	v_mul_f32_e32 v57, v57, v143                               // 000000005F14: 0A731F39
	v_mul_f32_e64 v54, v54, s6                                 // 000000005F18: D1050036 00000D36
	v_mul_f32_e64 v55, v55, s6                                 // 000000005F20: D1050037 00000D37
	v_mul_f32_e64 v56, v56, s6                                 // 000000005F28: D1050038 00000D38
	v_mul_f32_e64 v57, v57, s6                                 // 000000005F30: D1050039 00000D39
	v_exp_f32_e32 v54, v54                                     // 000000005F38: 7E6C4136
	v_exp_f32_e32 v55, v55                                     // 000000005F3C: 7E6E4137
	v_exp_f32_e32 v56, v56                                     // 000000005F40: 7E704138
	buffer_load_dwordx4 a[28:31], v19, s[12:15], 0 offen offset:3072// 000000005F44: E05C1C00 80831C13
	v_exp_f32_e32 v57, v57                                     // 000000005F4C: 7E724139
	v_add_f32_e64 v54, v54, 1.0                                // 000000005F50: D1010036 0001E536
	v_add_f32_e64 v55, v55, 1.0                                // 000000005F58: D1010037 0001E537
	v_add_f32_e64 v56, v56, 1.0                                // 000000005F60: D1010038 0001E538
	v_add_f32_e64 v57, v57, 1.0                                // 000000005F68: D1010039 0001E539
	v_rcp_f32_e32 v54, v54                                     // 000000005F70: 7E6C4536
	v_rcp_f32_e32 v55, v55                                     // 000000005F74: 7E6E4537
	v_rcp_f32_e32 v56, v56                                     // 000000005F78: 7E704538
	v_rcp_f32_e32 v57, v57                                     // 000000005F7C: 7E724539
	v_mul_f32_e32 v140, v140, v54                              // 000000005F80: 0B186D8C
	v_mul_f32_e32 v141, v141, v55                              // 000000005F84: 0B1A6F8D
	v_mul_f32_e32 v142, v142, v56                              // 000000005F88: 0B1C718E
	v_mul_f32_e32 v143, v143, v57                              // 000000005F8C: 0B1E738F
	s_waitcnt vmcnt(24)                                        // 000000005F90: BF8C4F78
	buffer_load_dwordx4 a[32:35], v20, s[12:15], 0 offen       // 000000005F94: E05C1000 80832014
	v_mul_f32_e32 v54, v144, v144                              // 000000005F9C: 0A6D2190
	v_mul_f32_e32 v55, v145, v145                              // 000000005FA0: 0A6F2391
	v_mul_f32_e32 v56, v146, v146                              // 000000005FA4: 0A712592
	v_mul_f32_e32 v57, v147, v147                              // 000000005FA8: 0A732793
	v_fma_f32 v54, v54, s77, v5                                // 000000005FAC: D1CB0036 04149B36
	v_fma_f32 v55, v55, s77, v5                                // 000000005FB4: D1CB0037 04149B37
	v_fma_f32 v56, v56, s77, v5                                // 000000005FBC: D1CB0038 04149B38
	v_fma_f32 v57, v57, s77, v5                                // 000000005FC4: D1CB0039 04149B39
	v_mul_f32_e32 v54, v54, v144                               // 000000005FCC: 0A6D2136
	v_mul_f32_e32 v55, v55, v145                               // 000000005FD0: 0A6F2337
	v_mul_f32_e32 v56, v56, v146                               // 000000005FD4: 0A712538
	v_mul_f32_e32 v57, v57, v147                               // 000000005FD8: 0A732739
	v_mul_f32_e64 v54, v54, s6                                 // 000000005FDC: D1050036 00000D36
	v_mul_f32_e64 v55, v55, s6                                 // 000000005FE4: D1050037 00000D37
	v_mul_f32_e64 v56, v56, s6                                 // 000000005FEC: D1050038 00000D38
	v_mul_f32_e64 v57, v57, s6                                 // 000000005FF4: D1050039 00000D39
	v_exp_f32_e32 v54, v54                                     // 000000005FFC: 7E6C4136
	v_exp_f32_e32 v55, v55                                     // 000000006000: 7E6E4137
	v_exp_f32_e32 v56, v56                                     // 000000006004: 7E704138
	buffer_load_dwordx4 a[36:39], v20, s[12:15], 0 offen offset:1024// 000000006008: E05C1400 80832414
	v_exp_f32_e32 v57, v57                                     // 000000006010: 7E724139
	v_add_f32_e64 v54, v54, 1.0                                // 000000006014: D1010036 0001E536
	v_add_f32_e64 v55, v55, 1.0                                // 00000000601C: D1010037 0001E537
	v_add_f32_e64 v56, v56, 1.0                                // 000000006024: D1010038 0001E538
	v_add_f32_e64 v57, v57, 1.0                                // 00000000602C: D1010039 0001E539
	v_rcp_f32_e32 v54, v54                                     // 000000006034: 7E6C4536
	v_rcp_f32_e32 v55, v55                                     // 000000006038: 7E6E4537
	v_rcp_f32_e32 v56, v56                                     // 00000000603C: 7E704538
	v_rcp_f32_e32 v57, v57                                     // 000000006040: 7E724539
	v_mul_f32_e32 v144, v144, v54                              // 000000006044: 0B206D90
	v_mul_f32_e32 v145, v145, v55                              // 000000006048: 0B226F91
	v_mul_f32_e32 v146, v146, v56                              // 00000000604C: 0B247192
	v_mul_f32_e32 v147, v147, v57                              // 000000006050: 0B267393
	buffer_load_dwordx4 a[40:43], v20, s[12:15], 0 offen offset:2048// 000000006054: E05C1800 80832814
	v_mul_f32_e32 v54, v148, v148                              // 00000000605C: 0A6D2994
	v_mul_f32_e32 v55, v149, v149                              // 000000006060: 0A6F2B95
	v_mul_f32_e32 v56, v150, v150                              // 000000006064: 0A712D96
	v_mul_f32_e32 v57, v151, v151                              // 000000006068: 0A732F97
	v_fma_f32 v54, v54, s77, v5                                // 00000000606C: D1CB0036 04149B36
	v_fma_f32 v55, v55, s77, v5                                // 000000006074: D1CB0037 04149B37
	v_fma_f32 v56, v56, s77, v5                                // 00000000607C: D1CB0038 04149B38
	v_fma_f32 v57, v57, s77, v5                                // 000000006084: D1CB0039 04149B39
	v_mul_f32_e32 v54, v54, v148                               // 00000000608C: 0A6D2936
	v_mul_f32_e32 v55, v55, v149                               // 000000006090: 0A6F2B37
	v_mul_f32_e32 v56, v56, v150                               // 000000006094: 0A712D38
	v_mul_f32_e32 v57, v57, v151                               // 000000006098: 0A732F39
	v_mul_f32_e64 v54, v54, s6                                 // 00000000609C: D1050036 00000D36
	v_mul_f32_e64 v55, v55, s6                                 // 0000000060A4: D1050037 00000D37
	v_mul_f32_e64 v56, v56, s6                                 // 0000000060AC: D1050038 00000D38
	v_mul_f32_e64 v57, v57, s6                                 // 0000000060B4: D1050039 00000D39
	v_exp_f32_e32 v54, v54                                     // 0000000060BC: 7E6C4136
	v_exp_f32_e32 v55, v55                                     // 0000000060C0: 7E6E4137
	v_exp_f32_e32 v56, v56                                     // 0000000060C4: 7E704138
	buffer_load_dwordx4 a[44:47], v20, s[12:15], 0 offen offset:3072// 0000000060C8: E05C1C00 80832C14
	v_exp_f32_e32 v57, v57                                     // 0000000060D0: 7E724139
	v_add_f32_e64 v54, v54, 1.0                                // 0000000060D4: D1010036 0001E536
	v_add_f32_e64 v55, v55, 1.0                                // 0000000060DC: D1010037 0001E537
	v_add_f32_e64 v56, v56, 1.0                                // 0000000060E4: D1010038 0001E538
	v_add_f32_e64 v57, v57, 1.0                                // 0000000060EC: D1010039 0001E539
	v_rcp_f32_e32 v54, v54                                     // 0000000060F4: 7E6C4536
	v_rcp_f32_e32 v55, v55                                     // 0000000060F8: 7E6E4537
	v_rcp_f32_e32 v56, v56                                     // 0000000060FC: 7E704538
	v_rcp_f32_e32 v57, v57                                     // 000000006100: 7E724539
	v_mul_f32_e32 v148, v148, v54                              // 000000006104: 0B286D94
	v_mul_f32_e32 v149, v149, v55                              // 000000006108: 0B2A6F95
	v_mul_f32_e32 v150, v150, v56                              // 00000000610C: 0B2C7196
	v_mul_f32_e32 v151, v151, v57                              // 000000006110: 0B2E7397
	buffer_load_dwordx4 a[48:51], v21, s[12:15], 0 offen       // 000000006114: E05C1000 80833015
	v_mul_f32_e32 v54, v152, v152                              // 00000000611C: 0A6D3198
	v_mul_f32_e32 v55, v153, v153                              // 000000006120: 0A6F3399
	v_mul_f32_e32 v56, v154, v154                              // 000000006124: 0A71359A
	v_mul_f32_e32 v57, v155, v155                              // 000000006128: 0A73379B
	v_fma_f32 v54, v54, s77, v5                                // 00000000612C: D1CB0036 04149B36
	v_fma_f32 v55, v55, s77, v5                                // 000000006134: D1CB0037 04149B37
	v_fma_f32 v56, v56, s77, v5                                // 00000000613C: D1CB0038 04149B38
	v_fma_f32 v57, v57, s77, v5                                // 000000006144: D1CB0039 04149B39
	v_mul_f32_e32 v54, v54, v152                               // 00000000614C: 0A6D3136
	v_mul_f32_e32 v55, v55, v153                               // 000000006150: 0A6F3337
	v_mul_f32_e32 v56, v56, v154                               // 000000006154: 0A713538
	v_mul_f32_e32 v57, v57, v155                               // 000000006158: 0A733739
	v_mul_f32_e64 v54, v54, s6                                 // 00000000615C: D1050036 00000D36
	v_mul_f32_e64 v55, v55, s6                                 // 000000006164: D1050037 00000D37
	v_mul_f32_e64 v56, v56, s6                                 // 00000000616C: D1050038 00000D38
	v_mul_f32_e64 v57, v57, s6                                 // 000000006174: D1050039 00000D39
	v_exp_f32_e32 v54, v54                                     // 00000000617C: 7E6C4136
	v_exp_f32_e32 v55, v55                                     // 000000006180: 7E6E4137
	v_exp_f32_e32 v56, v56                                     // 000000006184: 7E704138
	buffer_load_dwordx4 a[52:55], v21, s[12:15], 0 offen offset:1024// 000000006188: E05C1400 80833415
	v_exp_f32_e32 v57, v57                                     // 000000006190: 7E724139
	v_add_f32_e64 v54, v54, 1.0                                // 000000006194: D1010036 0001E536
	v_add_f32_e64 v55, v55, 1.0                                // 00000000619C: D1010037 0001E537
	v_add_f32_e64 v56, v56, 1.0                                // 0000000061A4: D1010038 0001E538
	v_add_f32_e64 v57, v57, 1.0                                // 0000000061AC: D1010039 0001E539
	v_rcp_f32_e32 v54, v54                                     // 0000000061B4: 7E6C4536
	v_rcp_f32_e32 v55, v55                                     // 0000000061B8: 7E6E4537
	v_rcp_f32_e32 v56, v56                                     // 0000000061BC: 7E704538
	v_rcp_f32_e32 v57, v57                                     // 0000000061C0: 7E724539
	v_mul_f32_e32 v152, v152, v54                              // 0000000061C4: 0B306D98
	v_mul_f32_e32 v153, v153, v55                              // 0000000061C8: 0B326F99
	v_mul_f32_e32 v154, v154, v56                              // 0000000061CC: 0B34719A
	v_mul_f32_e32 v155, v155, v57                              // 0000000061D0: 0B36739B
	buffer_load_dwordx4 a[56:59], v21, s[12:15], 0 offen offset:2048// 0000000061D4: E05C1800 80833815
	v_mul_f32_e32 v54, v156, v156                              // 0000000061DC: 0A6D399C
	v_mul_f32_e32 v55, v157, v157                              // 0000000061E0: 0A6F3B9D
	v_mul_f32_e32 v56, v158, v158                              // 0000000061E4: 0A713D9E
	v_mul_f32_e32 v57, v159, v159                              // 0000000061E8: 0A733F9F
	v_fma_f32 v54, v54, s77, v5                                // 0000000061EC: D1CB0036 04149B36
	v_fma_f32 v55, v55, s77, v5                                // 0000000061F4: D1CB0037 04149B37
	v_fma_f32 v56, v56, s77, v5                                // 0000000061FC: D1CB0038 04149B38
	v_fma_f32 v57, v57, s77, v5                                // 000000006204: D1CB0039 04149B39
	v_mul_f32_e32 v54, v54, v156                               // 00000000620C: 0A6D3936
	v_mul_f32_e32 v55, v55, v157                               // 000000006210: 0A6F3B37
	v_mul_f32_e32 v56, v56, v158                               // 000000006214: 0A713D38
	v_mul_f32_e32 v57, v57, v159                               // 000000006218: 0A733F39
	v_mul_f32_e64 v54, v54, s6                                 // 00000000621C: D1050036 00000D36
	v_mul_f32_e64 v55, v55, s6                                 // 000000006224: D1050037 00000D37
	v_mul_f32_e64 v56, v56, s6                                 // 00000000622C: D1050038 00000D38
	v_mul_f32_e64 v57, v57, s6                                 // 000000006234: D1050039 00000D39
	v_exp_f32_e32 v54, v54                                     // 00000000623C: 7E6C4136
	v_exp_f32_e32 v55, v55                                     // 000000006240: 7E6E4137
	v_exp_f32_e32 v56, v56                                     // 000000006244: 7E704138
	buffer_load_dwordx4 a[60:63], v21, s[12:15], 0 offen offset:3072// 000000006248: E05C1C00 80833C15
	v_exp_f32_e32 v57, v57                                     // 000000006250: 7E724139
	v_add_f32_e64 v54, v54, 1.0                                // 000000006254: D1010036 0001E536
	v_add_f32_e64 v55, v55, 1.0                                // 00000000625C: D1010037 0001E537
	v_add_f32_e64 v56, v56, 1.0                                // 000000006264: D1010038 0001E538
	v_add_f32_e64 v57, v57, 1.0                                // 00000000626C: D1010039 0001E539
	v_rcp_f32_e32 v54, v54                                     // 000000006274: 7E6C4536
	v_rcp_f32_e32 v55, v55                                     // 000000006278: 7E6E4537
	v_rcp_f32_e32 v56, v56                                     // 00000000627C: 7E704538
	v_rcp_f32_e32 v57, v57                                     // 000000006280: 7E724539
	v_mul_f32_e32 v156, v156, v54                              // 000000006284: 0B386D9C
	v_mul_f32_e32 v157, v157, v55                              // 000000006288: 0B3A6F9D
	v_mul_f32_e32 v158, v158, v56                              // 00000000628C: 0B3C719E
	v_mul_f32_e32 v159, v159, v57                              // 000000006290: 0B3E739F
	s_waitcnt vmcnt(24)                                        // 000000006294: BF8C4F78
	buffer_load_dwordx4 a[64:67], v22, s[12:15], 0 offen       // 000000006298: E05C1000 80834016
	v_mul_f32_e32 v54, v160, v160                              // 0000000062A0: 0A6D41A0
	v_mul_f32_e32 v55, v161, v161                              // 0000000062A4: 0A6F43A1
	v_mul_f32_e32 v56, v162, v162                              // 0000000062A8: 0A7145A2
	v_mul_f32_e32 v57, v163, v163                              // 0000000062AC: 0A7347A3
	v_fma_f32 v54, v54, s77, v5                                // 0000000062B0: D1CB0036 04149B36
	v_fma_f32 v55, v55, s77, v5                                // 0000000062B8: D1CB0037 04149B37
	v_fma_f32 v56, v56, s77, v5                                // 0000000062C0: D1CB0038 04149B38
	v_fma_f32 v57, v57, s77, v5                                // 0000000062C8: D1CB0039 04149B39
	v_mul_f32_e32 v54, v54, v160                               // 0000000062D0: 0A6D4136
	v_mul_f32_e32 v55, v55, v161                               // 0000000062D4: 0A6F4337
	v_mul_f32_e32 v56, v56, v162                               // 0000000062D8: 0A714538
	v_mul_f32_e32 v57, v57, v163                               // 0000000062DC: 0A734739
	v_mul_f32_e64 v54, v54, s6                                 // 0000000062E0: D1050036 00000D36
	v_mul_f32_e64 v55, v55, s6                                 // 0000000062E8: D1050037 00000D37
	v_mul_f32_e64 v56, v56, s6                                 // 0000000062F0: D1050038 00000D38
	v_mul_f32_e64 v57, v57, s6                                 // 0000000062F8: D1050039 00000D39
	v_exp_f32_e32 v54, v54                                     // 000000006300: 7E6C4136
	v_exp_f32_e32 v55, v55                                     // 000000006304: 7E6E4137
	v_exp_f32_e32 v56, v56                                     // 000000006308: 7E704138
	buffer_load_dwordx4 a[68:71], v22, s[12:15], 0 offen offset:1024// 00000000630C: E05C1400 80834416
	v_exp_f32_e32 v57, v57                                     // 000000006314: 7E724139
	v_add_f32_e64 v54, v54, 1.0                                // 000000006318: D1010036 0001E536
	v_add_f32_e64 v55, v55, 1.0                                // 000000006320: D1010037 0001E537
	v_add_f32_e64 v56, v56, 1.0                                // 000000006328: D1010038 0001E538
	v_add_f32_e64 v57, v57, 1.0                                // 000000006330: D1010039 0001E539
	v_rcp_f32_e32 v54, v54                                     // 000000006338: 7E6C4536
	v_rcp_f32_e32 v55, v55                                     // 00000000633C: 7E6E4537
	v_rcp_f32_e32 v56, v56                                     // 000000006340: 7E704538
	v_rcp_f32_e32 v57, v57                                     // 000000006344: 7E724539
	v_mul_f32_e32 v160, v160, v54                              // 000000006348: 0B406DA0
	v_mul_f32_e32 v161, v161, v55                              // 00000000634C: 0B426FA1
	v_mul_f32_e32 v162, v162, v56                              // 000000006350: 0B4471A2
	v_mul_f32_e32 v163, v163, v57                              // 000000006354: 0B4673A3
	buffer_load_dwordx4 a[72:75], v22, s[12:15], 0 offen offset:2048// 000000006358: E05C1800 80834816
	v_mul_f32_e32 v54, v164, v164                              // 000000006360: 0A6D49A4
	v_mul_f32_e32 v55, v165, v165                              // 000000006364: 0A6F4BA5
	v_mul_f32_e32 v56, v166, v166                              // 000000006368: 0A714DA6
	v_mul_f32_e32 v57, v167, v167                              // 00000000636C: 0A734FA7
	v_fma_f32 v54, v54, s77, v5                                // 000000006370: D1CB0036 04149B36
	v_fma_f32 v55, v55, s77, v5                                // 000000006378: D1CB0037 04149B37
	v_fma_f32 v56, v56, s77, v5                                // 000000006380: D1CB0038 04149B38
	v_fma_f32 v57, v57, s77, v5                                // 000000006388: D1CB0039 04149B39
	v_mul_f32_e32 v54, v54, v164                               // 000000006390: 0A6D4936
	v_mul_f32_e32 v55, v55, v165                               // 000000006394: 0A6F4B37
	v_mul_f32_e32 v56, v56, v166                               // 000000006398: 0A714D38
	v_mul_f32_e32 v57, v57, v167                               // 00000000639C: 0A734F39
	v_mul_f32_e64 v54, v54, s6                                 // 0000000063A0: D1050036 00000D36
	v_mul_f32_e64 v55, v55, s6                                 // 0000000063A8: D1050037 00000D37
	v_mul_f32_e64 v56, v56, s6                                 // 0000000063B0: D1050038 00000D38
	v_mul_f32_e64 v57, v57, s6                                 // 0000000063B8: D1050039 00000D39
	v_exp_f32_e32 v54, v54                                     // 0000000063C0: 7E6C4136
	v_exp_f32_e32 v55, v55                                     // 0000000063C4: 7E6E4137
	v_exp_f32_e32 v56, v56                                     // 0000000063C8: 7E704138
	buffer_load_dwordx4 a[76:79], v22, s[12:15], 0 offen offset:3072// 0000000063CC: E05C1C00 80834C16
	v_exp_f32_e32 v57, v57                                     // 0000000063D4: 7E724139
	v_add_f32_e64 v54, v54, 1.0                                // 0000000063D8: D1010036 0001E536
	v_add_f32_e64 v55, v55, 1.0                                // 0000000063E0: D1010037 0001E537
	v_add_f32_e64 v56, v56, 1.0                                // 0000000063E8: D1010038 0001E538
	v_add_f32_e64 v57, v57, 1.0                                // 0000000063F0: D1010039 0001E539
	v_rcp_f32_e32 v54, v54                                     // 0000000063F8: 7E6C4536
	v_rcp_f32_e32 v55, v55                                     // 0000000063FC: 7E6E4537
	v_rcp_f32_e32 v56, v56                                     // 000000006400: 7E704538
	v_rcp_f32_e32 v57, v57                                     // 000000006404: 7E724539
	v_mul_f32_e32 v164, v164, v54                              // 000000006408: 0B486DA4
	v_mul_f32_e32 v165, v165, v55                              // 00000000640C: 0B4A6FA5
	v_mul_f32_e32 v166, v166, v56                              // 000000006410: 0B4C71A6
	v_mul_f32_e32 v167, v167, v57                              // 000000006414: 0B4E73A7
	buffer_load_dwordx4 a[80:83], v23, s[12:15], 0 offen       // 000000006418: E05C1000 80835017
	v_mul_f32_e32 v54, v168, v168                              // 000000006420: 0A6D51A8
	v_mul_f32_e32 v55, v169, v169                              // 000000006424: 0A6F53A9
	v_mul_f32_e32 v56, v170, v170                              // 000000006428: 0A7155AA
	v_mul_f32_e32 v57, v171, v171                              // 00000000642C: 0A7357AB
	v_fma_f32 v54, v54, s77, v5                                // 000000006430: D1CB0036 04149B36
	v_fma_f32 v55, v55, s77, v5                                // 000000006438: D1CB0037 04149B37
	v_fma_f32 v56, v56, s77, v5                                // 000000006440: D1CB0038 04149B38
	v_fma_f32 v57, v57, s77, v5                                // 000000006448: D1CB0039 04149B39
	v_mul_f32_e32 v54, v54, v168                               // 000000006450: 0A6D5136
	v_mul_f32_e32 v55, v55, v169                               // 000000006454: 0A6F5337
	v_mul_f32_e32 v56, v56, v170                               // 000000006458: 0A715538
	v_mul_f32_e32 v57, v57, v171                               // 00000000645C: 0A735739
	v_mul_f32_e64 v54, v54, s6                                 // 000000006460: D1050036 00000D36
	v_mul_f32_e64 v55, v55, s6                                 // 000000006468: D1050037 00000D37
	v_mul_f32_e64 v56, v56, s6                                 // 000000006470: D1050038 00000D38
	v_mul_f32_e64 v57, v57, s6                                 // 000000006478: D1050039 00000D39
	v_exp_f32_e32 v54, v54                                     // 000000006480: 7E6C4136
	v_exp_f32_e32 v55, v55                                     // 000000006484: 7E6E4137
	v_exp_f32_e32 v56, v56                                     // 000000006488: 7E704138
	buffer_load_dwordx4 a[84:87], v23, s[12:15], 0 offen offset:1024// 00000000648C: E05C1400 80835417
	v_exp_f32_e32 v57, v57                                     // 000000006494: 7E724139
	v_add_f32_e64 v54, v54, 1.0                                // 000000006498: D1010036 0001E536
	v_add_f32_e64 v55, v55, 1.0                                // 0000000064A0: D1010037 0001E537
	v_add_f32_e64 v56, v56, 1.0                                // 0000000064A8: D1010038 0001E538
	v_add_f32_e64 v57, v57, 1.0                                // 0000000064B0: D1010039 0001E539
	v_rcp_f32_e32 v54, v54                                     // 0000000064B8: 7E6C4536
	v_rcp_f32_e32 v55, v55                                     // 0000000064BC: 7E6E4537
	v_rcp_f32_e32 v56, v56                                     // 0000000064C0: 7E704538
	v_rcp_f32_e32 v57, v57                                     // 0000000064C4: 7E724539
	v_mul_f32_e32 v168, v168, v54                              // 0000000064C8: 0B506DA8
	v_mul_f32_e32 v169, v169, v55                              // 0000000064CC: 0B526FA9
	v_mul_f32_e32 v170, v170, v56                              // 0000000064D0: 0B5471AA
	v_mul_f32_e32 v171, v171, v57                              // 0000000064D4: 0B5673AB
	buffer_load_dwordx4 a[88:91], v23, s[12:15], 0 offen offset:2048// 0000000064D8: E05C1800 80835817
	v_mul_f32_e32 v54, v172, v172                              // 0000000064E0: 0A6D59AC
	v_mul_f32_e32 v55, v173, v173                              // 0000000064E4: 0A6F5BAD
	v_mul_f32_e32 v56, v174, v174                              // 0000000064E8: 0A715DAE
	v_mul_f32_e32 v57, v175, v175                              // 0000000064EC: 0A735FAF
	v_fma_f32 v54, v54, s77, v5                                // 0000000064F0: D1CB0036 04149B36
	v_fma_f32 v55, v55, s77, v5                                // 0000000064F8: D1CB0037 04149B37
	v_fma_f32 v56, v56, s77, v5                                // 000000006500: D1CB0038 04149B38
	v_fma_f32 v57, v57, s77, v5                                // 000000006508: D1CB0039 04149B39
	v_mul_f32_e32 v54, v54, v172                               // 000000006510: 0A6D5936
	v_mul_f32_e32 v55, v55, v173                               // 000000006514: 0A6F5B37
	v_mul_f32_e32 v56, v56, v174                               // 000000006518: 0A715D38
	v_mul_f32_e32 v57, v57, v175                               // 00000000651C: 0A735F39
	v_mul_f32_e64 v54, v54, s6                                 // 000000006520: D1050036 00000D36
	v_mul_f32_e64 v55, v55, s6                                 // 000000006528: D1050037 00000D37
	v_mul_f32_e64 v56, v56, s6                                 // 000000006530: D1050038 00000D38
	v_mul_f32_e64 v57, v57, s6                                 // 000000006538: D1050039 00000D39
	v_exp_f32_e32 v54, v54                                     // 000000006540: 7E6C4136
	v_exp_f32_e32 v55, v55                                     // 000000006544: 7E6E4137
	v_exp_f32_e32 v56, v56                                     // 000000006548: 7E704138
	buffer_load_dwordx4 a[92:95], v23, s[12:15], 0 offen offset:3072// 00000000654C: E05C1C00 80835C17
	v_exp_f32_e32 v57, v57                                     // 000000006554: 7E724139
	v_add_f32_e64 v54, v54, 1.0                                // 000000006558: D1010036 0001E536
	v_add_f32_e64 v55, v55, 1.0                                // 000000006560: D1010037 0001E537
	v_add_f32_e64 v56, v56, 1.0                                // 000000006568: D1010038 0001E538
	v_add_f32_e64 v57, v57, 1.0                                // 000000006570: D1010039 0001E539
	v_rcp_f32_e32 v54, v54                                     // 000000006578: 7E6C4536
	v_rcp_f32_e32 v55, v55                                     // 00000000657C: 7E6E4537
	v_rcp_f32_e32 v56, v56                                     // 000000006580: 7E704538
	v_rcp_f32_e32 v57, v57                                     // 000000006584: 7E724539
	v_mul_f32_e32 v172, v172, v54                              // 000000006588: 0B586DAC
	v_mul_f32_e32 v173, v173, v55                              // 00000000658C: 0B5A6FAD
	v_mul_f32_e32 v174, v174, v56                              // 000000006590: 0B5C71AE
	v_mul_f32_e32 v175, v175, v57                              // 000000006594: 0B5E73AF
	s_waitcnt vmcnt(24)                                        // 000000006598: BF8C4F78
	buffer_load_dwordx4 a[96:99], v24, s[12:15], 0 offen       // 00000000659C: E05C1000 80836018
	v_mul_f32_e32 v54, v176, v176                              // 0000000065A4: 0A6D61B0
	v_mul_f32_e32 v55, v177, v177                              // 0000000065A8: 0A6F63B1
	v_mul_f32_e32 v56, v178, v178                              // 0000000065AC: 0A7165B2
	v_mul_f32_e32 v57, v179, v179                              // 0000000065B0: 0A7367B3
	v_fma_f32 v54, v54, s77, v5                                // 0000000065B4: D1CB0036 04149B36
	v_fma_f32 v55, v55, s77, v5                                // 0000000065BC: D1CB0037 04149B37
	v_fma_f32 v56, v56, s77, v5                                // 0000000065C4: D1CB0038 04149B38
	v_fma_f32 v57, v57, s77, v5                                // 0000000065CC: D1CB0039 04149B39
	v_mul_f32_e32 v54, v54, v176                               // 0000000065D4: 0A6D6136
	v_mul_f32_e32 v55, v55, v177                               // 0000000065D8: 0A6F6337
	v_mul_f32_e32 v56, v56, v178                               // 0000000065DC: 0A716538
	v_mul_f32_e32 v57, v57, v179                               // 0000000065E0: 0A736739
	v_mul_f32_e64 v54, v54, s6                                 // 0000000065E4: D1050036 00000D36
	v_mul_f32_e64 v55, v55, s6                                 // 0000000065EC: D1050037 00000D37
	v_mul_f32_e64 v56, v56, s6                                 // 0000000065F4: D1050038 00000D38
	v_mul_f32_e64 v57, v57, s6                                 // 0000000065FC: D1050039 00000D39
	v_exp_f32_e32 v54, v54                                     // 000000006604: 7E6C4136
	v_exp_f32_e32 v55, v55                                     // 000000006608: 7E6E4137
	v_exp_f32_e32 v56, v56                                     // 00000000660C: 7E704138
	buffer_load_dwordx4 a[100:103], v24, s[12:15], 0 offen offset:1024// 000000006610: E05C1400 80836418
	v_exp_f32_e32 v57, v57                                     // 000000006618: 7E724139
	v_add_f32_e64 v54, v54, 1.0                                // 00000000661C: D1010036 0001E536
	v_add_f32_e64 v55, v55, 1.0                                // 000000006624: D1010037 0001E537
	v_add_f32_e64 v56, v56, 1.0                                // 00000000662C: D1010038 0001E538
	v_add_f32_e64 v57, v57, 1.0                                // 000000006634: D1010039 0001E539
	v_rcp_f32_e32 v54, v54                                     // 00000000663C: 7E6C4536
	v_rcp_f32_e32 v55, v55                                     // 000000006640: 7E6E4537
	v_rcp_f32_e32 v56, v56                                     // 000000006644: 7E704538
	v_rcp_f32_e32 v57, v57                                     // 000000006648: 7E724539
	v_mul_f32_e32 v176, v176, v54                              // 00000000664C: 0B606DB0
	v_mul_f32_e32 v177, v177, v55                              // 000000006650: 0B626FB1
	v_mul_f32_e32 v178, v178, v56                              // 000000006654: 0B6471B2
	v_mul_f32_e32 v179, v179, v57                              // 000000006658: 0B6673B3
	buffer_load_dwordx4 a[104:107], v24, s[12:15], 0 offen offset:2048// 00000000665C: E05C1800 80836818
	v_mul_f32_e32 v54, v180, v180                              // 000000006664: 0A6D69B4
	v_mul_f32_e32 v55, v181, v181                              // 000000006668: 0A6F6BB5
	v_mul_f32_e32 v56, v182, v182                              // 00000000666C: 0A716DB6
	v_mul_f32_e32 v57, v183, v183                              // 000000006670: 0A736FB7
	v_fma_f32 v54, v54, s77, v5                                // 000000006674: D1CB0036 04149B36
	v_fma_f32 v55, v55, s77, v5                                // 00000000667C: D1CB0037 04149B37
	v_fma_f32 v56, v56, s77, v5                                // 000000006684: D1CB0038 04149B38
	v_fma_f32 v57, v57, s77, v5                                // 00000000668C: D1CB0039 04149B39
	v_mul_f32_e32 v54, v54, v180                               // 000000006694: 0A6D6936
	v_mul_f32_e32 v55, v55, v181                               // 000000006698: 0A6F6B37
	v_mul_f32_e32 v56, v56, v182                               // 00000000669C: 0A716D38
	v_mul_f32_e32 v57, v57, v183                               // 0000000066A0: 0A736F39
	v_mul_f32_e64 v54, v54, s6                                 // 0000000066A4: D1050036 00000D36
	v_mul_f32_e64 v55, v55, s6                                 // 0000000066AC: D1050037 00000D37
	v_mul_f32_e64 v56, v56, s6                                 // 0000000066B4: D1050038 00000D38
	v_mul_f32_e64 v57, v57, s6                                 // 0000000066BC: D1050039 00000D39
	v_exp_f32_e32 v54, v54                                     // 0000000066C4: 7E6C4136
	v_exp_f32_e32 v55, v55                                     // 0000000066C8: 7E6E4137
	v_exp_f32_e32 v56, v56                                     // 0000000066CC: 7E704138
	buffer_load_dwordx4 a[108:111], v24, s[12:15], 0 offen offset:3072// 0000000066D0: E05C1C00 80836C18
	v_exp_f32_e32 v57, v57                                     // 0000000066D8: 7E724139
	v_add_f32_e64 v54, v54, 1.0                                // 0000000066DC: D1010036 0001E536
	v_add_f32_e64 v55, v55, 1.0                                // 0000000066E4: D1010037 0001E537
	v_add_f32_e64 v56, v56, 1.0                                // 0000000066EC: D1010038 0001E538
	v_add_f32_e64 v57, v57, 1.0                                // 0000000066F4: D1010039 0001E539
	v_rcp_f32_e32 v54, v54                                     // 0000000066FC: 7E6C4536
	v_rcp_f32_e32 v55, v55                                     // 000000006700: 7E6E4537
	v_rcp_f32_e32 v56, v56                                     // 000000006704: 7E704538
	v_rcp_f32_e32 v57, v57                                     // 000000006708: 7E724539
	v_mul_f32_e32 v180, v180, v54                              // 00000000670C: 0B686DB4
	v_mul_f32_e32 v181, v181, v55                              // 000000006710: 0B6A6FB5
	v_mul_f32_e32 v182, v182, v56                              // 000000006714: 0B6C71B6
	v_mul_f32_e32 v183, v183, v57                              // 000000006718: 0B6E73B7
	buffer_load_dwordx4 a[112:115], v25, s[12:15], 0 offen     // 00000000671C: E05C1000 80837019
	v_mul_f32_e32 v54, v184, v184                              // 000000006724: 0A6D71B8
	v_mul_f32_e32 v55, v185, v185                              // 000000006728: 0A6F73B9
	v_mul_f32_e32 v56, v186, v186                              // 00000000672C: 0A7175BA
	v_mul_f32_e32 v57, v187, v187                              // 000000006730: 0A7377BB
	v_fma_f32 v54, v54, s77, v5                                // 000000006734: D1CB0036 04149B36
	v_fma_f32 v55, v55, s77, v5                                // 00000000673C: D1CB0037 04149B37
	v_fma_f32 v56, v56, s77, v5                                // 000000006744: D1CB0038 04149B38
	v_fma_f32 v57, v57, s77, v5                                // 00000000674C: D1CB0039 04149B39
	v_mul_f32_e32 v54, v54, v184                               // 000000006754: 0A6D7136
	v_mul_f32_e32 v55, v55, v185                               // 000000006758: 0A6F7337
	v_mul_f32_e32 v56, v56, v186                               // 00000000675C: 0A717538
	v_mul_f32_e32 v57, v57, v187                               // 000000006760: 0A737739
	v_mul_f32_e64 v54, v54, s6                                 // 000000006764: D1050036 00000D36
	v_mul_f32_e64 v55, v55, s6                                 // 00000000676C: D1050037 00000D37
	v_mul_f32_e64 v56, v56, s6                                 // 000000006774: D1050038 00000D38
	v_mul_f32_e64 v57, v57, s6                                 // 00000000677C: D1050039 00000D39
	v_exp_f32_e32 v54, v54                                     // 000000006784: 7E6C4136
	v_exp_f32_e32 v55, v55                                     // 000000006788: 7E6E4137
	v_exp_f32_e32 v56, v56                                     // 00000000678C: 7E704138
	buffer_load_dwordx4 a[116:119], v25, s[12:15], 0 offen offset:1024// 000000006790: E05C1400 80837419
	v_exp_f32_e32 v57, v57                                     // 000000006798: 7E724139
	v_add_f32_e64 v54, v54, 1.0                                // 00000000679C: D1010036 0001E536
	v_add_f32_e64 v55, v55, 1.0                                // 0000000067A4: D1010037 0001E537
	v_add_f32_e64 v56, v56, 1.0                                // 0000000067AC: D1010038 0001E538
	v_add_f32_e64 v57, v57, 1.0                                // 0000000067B4: D1010039 0001E539
	v_rcp_f32_e32 v54, v54                                     // 0000000067BC: 7E6C4536
	v_rcp_f32_e32 v55, v55                                     // 0000000067C0: 7E6E4537
	v_rcp_f32_e32 v56, v56                                     // 0000000067C4: 7E704538
	v_rcp_f32_e32 v57, v57                                     // 0000000067C8: 7E724539
	v_mul_f32_e32 v184, v184, v54                              // 0000000067CC: 0B706DB8
	v_mul_f32_e32 v185, v185, v55                              // 0000000067D0: 0B726FB9
	v_mul_f32_e32 v186, v186, v56                              // 0000000067D4: 0B7471BA
	v_mul_f32_e32 v187, v187, v57                              // 0000000067D8: 0B7673BB
	buffer_load_dwordx4 a[120:123], v25, s[12:15], 0 offen offset:2048// 0000000067DC: E05C1800 80837819
	v_mul_f32_e32 v54, v188, v188                              // 0000000067E4: 0A6D79BC
	v_mul_f32_e32 v55, v189, v189                              // 0000000067E8: 0A6F7BBD
	v_mul_f32_e32 v56, v190, v190                              // 0000000067EC: 0A717DBE
	v_mul_f32_e32 v57, v191, v191                              // 0000000067F0: 0A737FBF
	v_fma_f32 v54, v54, s77, v5                                // 0000000067F4: D1CB0036 04149B36
	v_fma_f32 v55, v55, s77, v5                                // 0000000067FC: D1CB0037 04149B37
	v_fma_f32 v56, v56, s77, v5                                // 000000006804: D1CB0038 04149B38
	v_fma_f32 v57, v57, s77, v5                                // 00000000680C: D1CB0039 04149B39
	v_mul_f32_e32 v54, v54, v188                               // 000000006814: 0A6D7936
	v_mul_f32_e32 v55, v55, v189                               // 000000006818: 0A6F7B37
	v_mul_f32_e32 v56, v56, v190                               // 00000000681C: 0A717D38
	v_mul_f32_e32 v57, v57, v191                               // 000000006820: 0A737F39
	v_mul_f32_e64 v54, v54, s6                                 // 000000006824: D1050036 00000D36
	v_mul_f32_e64 v55, v55, s6                                 // 00000000682C: D1050037 00000D37
	v_mul_f32_e64 v56, v56, s6                                 // 000000006834: D1050038 00000D38
	v_mul_f32_e64 v57, v57, s6                                 // 00000000683C: D1050039 00000D39
	v_exp_f32_e32 v54, v54                                     // 000000006844: 7E6C4136
	v_exp_f32_e32 v55, v55                                     // 000000006848: 7E6E4137
	v_exp_f32_e32 v56, v56                                     // 00000000684C: 7E704138
	buffer_load_dwordx4 a[124:127], v25, s[12:15], 0 offen offset:3072// 000000006850: E05C1C00 80837C19
	v_exp_f32_e32 v57, v57                                     // 000000006858: 7E724139
	v_add_f32_e64 v54, v54, 1.0                                // 00000000685C: D1010036 0001E536
	v_add_f32_e64 v55, v55, 1.0                                // 000000006864: D1010037 0001E537
	v_add_f32_e64 v56, v56, 1.0                                // 00000000686C: D1010038 0001E538
	v_add_f32_e64 v57, v57, 1.0                                // 000000006874: D1010039 0001E539
	v_rcp_f32_e32 v54, v54                                     // 00000000687C: 7E6C4536
	v_rcp_f32_e32 v55, v55                                     // 000000006880: 7E6E4537
	v_rcp_f32_e32 v56, v56                                     // 000000006884: 7E704538
	v_rcp_f32_e32 v57, v57                                     // 000000006888: 7E724539
	v_mul_f32_e32 v188, v188, v54                              // 00000000688C: 0B786DBC
	v_mul_f32_e32 v189, v189, v55                              // 000000006890: 0B7A6FBD
	v_mul_f32_e32 v190, v190, v56                              // 000000006894: 0B7C71BE
	v_mul_f32_e32 v191, v191, v57                              // 000000006898: 0B7E73BF
	v_cvt_f16_f32_e32 v128, v128                               // 00000000689C: 7F001580
	v_cvt_f16_f32_sdwa v128, v129 dst_sel:WORD_1 dst_unused:UNUSED_PRESERVE src0_sel:DWORD// 0000000068A0: 7F0014F9 00061581
	v_cvt_f16_f32_e32 v129, v130                               // 0000000068A8: 7F021582
	v_cvt_f16_f32_sdwa v129, v131 dst_sel:WORD_1 dst_unused:UNUSED_PRESERVE src0_sel:DWORD// 0000000068AC: 7F0214F9 00061583
	v_cvt_f16_f32_e32 v130, v132                               // 0000000068B4: 7F041584
	v_cvt_f16_f32_sdwa v130, v133 dst_sel:WORD_1 dst_unused:UNUSED_PRESERVE src0_sel:DWORD// 0000000068B8: 7F0414F9 00061585
	v_cvt_f16_f32_e32 v131, v134                               // 0000000068C0: 7F061586
	v_cvt_f16_f32_sdwa v131, v135 dst_sel:WORD_1 dst_unused:UNUSED_PRESERVE src0_sel:DWORD// 0000000068C4: 7F0614F9 00061587
	v_cvt_f16_f32_e32 v132, v136                               // 0000000068CC: 7F081588
	v_cvt_f16_f32_sdwa v132, v137 dst_sel:WORD_1 dst_unused:UNUSED_PRESERVE src0_sel:DWORD// 0000000068D0: 7F0814F9 00061589
	v_cvt_f16_f32_e32 v133, v138                               // 0000000068D8: 7F0A158A
	v_cvt_f16_f32_sdwa v133, v139 dst_sel:WORD_1 dst_unused:UNUSED_PRESERVE src0_sel:DWORD// 0000000068DC: 7F0A14F9 0006158B
	v_cvt_f16_f32_e32 v134, v140                               // 0000000068E4: 7F0C158C
	v_cvt_f16_f32_sdwa v134, v141 dst_sel:WORD_1 dst_unused:UNUSED_PRESERVE src0_sel:DWORD// 0000000068E8: 7F0C14F9 0006158D
	v_cvt_f16_f32_e32 v135, v142                               // 0000000068F0: 7F0E158E
	v_cvt_f16_f32_sdwa v135, v143 dst_sel:WORD_1 dst_unused:UNUSED_PRESERVE src0_sel:DWORD// 0000000068F4: 7F0E14F9 0006158F
	v_cvt_f16_f32_e32 v136, v144                               // 0000000068FC: 7F101590
	v_cvt_f16_f32_sdwa v136, v145 dst_sel:WORD_1 dst_unused:UNUSED_PRESERVE src0_sel:DWORD// 000000006900: 7F1014F9 00061591
	v_cvt_f16_f32_e32 v137, v146                               // 000000006908: 7F121592
	v_cvt_f16_f32_sdwa v137, v147 dst_sel:WORD_1 dst_unused:UNUSED_PRESERVE src0_sel:DWORD// 00000000690C: 7F1214F9 00061593
	v_cvt_f16_f32_e32 v138, v148                               // 000000006914: 7F141594
	v_cvt_f16_f32_sdwa v138, v149 dst_sel:WORD_1 dst_unused:UNUSED_PRESERVE src0_sel:DWORD// 000000006918: 7F1414F9 00061595
	v_cvt_f16_f32_e32 v139, v150                               // 000000006920: 7F161596
	v_cvt_f16_f32_sdwa v139, v151 dst_sel:WORD_1 dst_unused:UNUSED_PRESERVE src0_sel:DWORD// 000000006924: 7F1614F9 00061597
	v_cvt_f16_f32_e32 v140, v152                               // 00000000692C: 7F181598
	v_cvt_f16_f32_sdwa v140, v153 dst_sel:WORD_1 dst_unused:UNUSED_PRESERVE src0_sel:DWORD// 000000006930: 7F1814F9 00061599
	v_cvt_f16_f32_e32 v141, v154                               // 000000006938: 7F1A159A
	v_cvt_f16_f32_sdwa v141, v155 dst_sel:WORD_1 dst_unused:UNUSED_PRESERVE src0_sel:DWORD// 00000000693C: 7F1A14F9 0006159B
	v_cvt_f16_f32_e32 v142, v156                               // 000000006944: 7F1C159C
	v_cvt_f16_f32_sdwa v142, v157 dst_sel:WORD_1 dst_unused:UNUSED_PRESERVE src0_sel:DWORD// 000000006948: 7F1C14F9 0006159D
	v_cvt_f16_f32_e32 v143, v158                               // 000000006950: 7F1E159E
	v_cvt_f16_f32_sdwa v143, v159 dst_sel:WORD_1 dst_unused:UNUSED_PRESERVE src0_sel:DWORD// 000000006954: 7F1E14F9 0006159F
	v_cvt_f16_f32_e32 v144, v160                               // 00000000695C: 7F2015A0
	v_cvt_f16_f32_sdwa v144, v161 dst_sel:WORD_1 dst_unused:UNUSED_PRESERVE src0_sel:DWORD// 000000006960: 7F2014F9 000615A1
	v_cvt_f16_f32_e32 v145, v162                               // 000000006968: 7F2215A2
	v_cvt_f16_f32_sdwa v145, v163 dst_sel:WORD_1 dst_unused:UNUSED_PRESERVE src0_sel:DWORD// 00000000696C: 7F2214F9 000615A3
	v_cvt_f16_f32_e32 v146, v164                               // 000000006974: 7F2415A4
	v_cvt_f16_f32_sdwa v146, v165 dst_sel:WORD_1 dst_unused:UNUSED_PRESERVE src0_sel:DWORD// 000000006978: 7F2414F9 000615A5
	v_cvt_f16_f32_e32 v147, v166                               // 000000006980: 7F2615A6
	v_cvt_f16_f32_sdwa v147, v167 dst_sel:WORD_1 dst_unused:UNUSED_PRESERVE src0_sel:DWORD// 000000006984: 7F2614F9 000615A7
	v_cvt_f16_f32_e32 v148, v168                               // 00000000698C: 7F2815A8
	v_cvt_f16_f32_sdwa v148, v169 dst_sel:WORD_1 dst_unused:UNUSED_PRESERVE src0_sel:DWORD// 000000006990: 7F2814F9 000615A9
	v_cvt_f16_f32_e32 v149, v170                               // 000000006998: 7F2A15AA
	v_cvt_f16_f32_sdwa v149, v171 dst_sel:WORD_1 dst_unused:UNUSED_PRESERVE src0_sel:DWORD// 00000000699C: 7F2A14F9 000615AB
	v_cvt_f16_f32_e32 v150, v172                               // 0000000069A4: 7F2C15AC
	v_cvt_f16_f32_sdwa v150, v173 dst_sel:WORD_1 dst_unused:UNUSED_PRESERVE src0_sel:DWORD// 0000000069A8: 7F2C14F9 000615AD
	v_cvt_f16_f32_e32 v151, v174                               // 0000000069B0: 7F2E15AE
	v_cvt_f16_f32_sdwa v151, v175 dst_sel:WORD_1 dst_unused:UNUSED_PRESERVE src0_sel:DWORD// 0000000069B4: 7F2E14F9 000615AF
	v_cvt_f16_f32_e32 v152, v176                               // 0000000069BC: 7F3015B0
	v_cvt_f16_f32_sdwa v152, v177 dst_sel:WORD_1 dst_unused:UNUSED_PRESERVE src0_sel:DWORD// 0000000069C0: 7F3014F9 000615B1
	v_cvt_f16_f32_e32 v153, v178                               // 0000000069C8: 7F3215B2
	v_cvt_f16_f32_sdwa v153, v179 dst_sel:WORD_1 dst_unused:UNUSED_PRESERVE src0_sel:DWORD// 0000000069CC: 7F3214F9 000615B3
	v_cvt_f16_f32_e32 v154, v180                               // 0000000069D4: 7F3415B4
	v_cvt_f16_f32_sdwa v154, v181 dst_sel:WORD_1 dst_unused:UNUSED_PRESERVE src0_sel:DWORD// 0000000069D8: 7F3414F9 000615B5
	v_cvt_f16_f32_e32 v155, v182                               // 0000000069E0: 7F3615B6
	v_cvt_f16_f32_sdwa v155, v183 dst_sel:WORD_1 dst_unused:UNUSED_PRESERVE src0_sel:DWORD// 0000000069E4: 7F3614F9 000615B7
	v_cvt_f16_f32_e32 v156, v184                               // 0000000069EC: 7F3815B8
	v_cvt_f16_f32_sdwa v156, v185 dst_sel:WORD_1 dst_unused:UNUSED_PRESERVE src0_sel:DWORD// 0000000069F0: 7F3814F9 000615B9
	v_cvt_f16_f32_e32 v157, v186                               // 0000000069F8: 7F3A15BA
	v_cvt_f16_f32_sdwa v157, v187 dst_sel:WORD_1 dst_unused:UNUSED_PRESERVE src0_sel:DWORD// 0000000069FC: 7F3A14F9 000615BB
	v_cvt_f16_f32_e32 v158, v188                               // 000000006A04: 7F3C15BC
	v_cvt_f16_f32_sdwa v158, v189 dst_sel:WORD_1 dst_unused:UNUSED_PRESERVE src0_sel:DWORD// 000000006A08: 7F3C14F9 000615BD
	v_cvt_f16_f32_e32 v159, v190                               // 000000006A10: 7F3E15BE
	v_cvt_f16_f32_sdwa v159, v191 dst_sel:WORD_1 dst_unused:UNUSED_PRESERVE src0_sel:DWORD// 000000006A14: 7F3E14F9 000615BF
	v_lshlrev_b32_e32 v54, 3, v0                               // 000000006A1C: 246C0083
	s_mul_i32 s60, 0x200, s7                                   // 000000006A20: 923C07FF 00000200
	v_add_u32_e64 v54, v54, s60                                // 000000006A28: D1340036 00007936
	ds_write_b64 v54, v[128:129] offset:16640                  // 000000006A30: D89A4100 00008036
	ds_write_b64 v54, v[130:131] offset:33024                  // 000000006A38: D89A8100 00008236
	ds_write_b64 v54, v[132:133] offset:18688                  // 000000006A40: D89A4900 00008436
	ds_write_b64 v54, v[134:135] offset:35072                  // 000000006A48: D89A8900 00008636
	ds_write_b64 v54, v[136:137] offset:20736                  // 000000006A50: D89A5100 00008836
	ds_write_b64 v54, v[138:139] offset:37120                  // 000000006A58: D89A9100 00008A36
	ds_write_b64 v54, v[140:141] offset:22784                  // 000000006A60: D89A5900 00008C36
	ds_write_b64 v54, v[142:143] offset:39168                  // 000000006A68: D89A9900 00008E36
	ds_write_b64 v54, v[144:145] offset:24832                  // 000000006A70: D89A6100 00009036
	ds_write_b64 v54, v[146:147] offset:41216                  // 000000006A78: D89AA100 00009236
	ds_write_b64 v54, v[148:149] offset:26880                  // 000000006A80: D89A6900 00009436
	ds_write_b64 v54, v[150:151] offset:43264                  // 000000006A88: D89AA900 00009636
	ds_write_b64 v54, v[152:153] offset:28928                  // 000000006A90: D89A7100 00009836
	ds_write_b64 v54, v[154:155] offset:45312                  // 000000006A98: D89AB100 00009A36
	ds_write_b64 v54, v[156:157] offset:30976                  // 000000006AA0: D89A7900 00009C36
	ds_write_b64 v54, v[158:159] offset:47360                  // 000000006AA8: D89AB900 00009E36
	s_waitcnt lgkmcnt(0)                                       // 000000006AB0: BF8CC07F
	s_barrier                                                  // 000000006AB4: BF8A0000
	v_lshrrev_b32_e32 v54, 4, v0                               // 000000006AB8: 206C0084
	v_lshlrev_b32_e32 v55, 6, v54                              // 000000006ABC: 246E6C86
	v_and_b32_e32 v54, 15, v0                                  // 000000006AC0: 266C008F
	v_lshlrev_b32_e32 v54, 1, v54                              // 000000006AC4: 246C6C81
	v_add_u32_e32 v55, v54, v55                                // 000000006AC8: 686E6F36
	v_lshlrev_b32_e32 v54, 2, v55                              // 000000006ACC: 246C6E82
	ds_read_b64 v[128:129], v54 offset:16640                   // 000000006AD0: D8EC4100 80000036
	ds_read_b64 v[130:131], v54 offset:16768                   // 000000006AD8: D8EC4180 82000036
	ds_read_b64 v[132:133], v54 offset:17664                   // 000000006AE0: D8EC4500 84000036
	ds_read_b64 v[134:135], v54 offset:17792                   // 000000006AE8: D8EC4580 86000036
	ds_read_b64 v[136:137], v54 offset:18688                   // 000000006AF0: D8EC4900 88000036
	ds_read_b64 v[138:139], v54 offset:18816                   // 000000006AF8: D8EC4980 8A000036
	ds_read_b64 v[140:141], v54 offset:19712                   // 000000006B00: D8EC4D00 8C000036
	ds_read_b64 v[142:143], v54 offset:19840                   // 000000006B08: D8EC4D80 8E000036
	ds_read_b64 v[144:145], v54 offset:20736                   // 000000006B10: D8EC5100 90000036
	ds_read_b64 v[146:147], v54 offset:20864                   // 000000006B18: D8EC5180 92000036
	ds_read_b64 v[148:149], v54 offset:21760                   // 000000006B20: D8EC5500 94000036
	ds_read_b64 v[150:151], v54 offset:21888                   // 000000006B28: D8EC5580 96000036
	ds_read_b64 v[152:153], v54 offset:22784                   // 000000006B30: D8EC5900 98000036
	ds_read_b64 v[154:155], v54 offset:22912                   // 000000006B38: D8EC5980 9A000036
	ds_read_b64 v[156:157], v54 offset:23808                   // 000000006B40: D8EC5D00 9C000036
	ds_read_b64 v[158:159], v54 offset:23936                   // 000000006B48: D8EC5D80 9E000036
	ds_read_b64 v[160:161], v54 offset:24832                   // 000000006B50: D8EC6100 A0000036
	ds_read_b64 v[162:163], v54 offset:24960                   // 000000006B58: D8EC6180 A2000036
	ds_read_b64 v[164:165], v54 offset:25856                   // 000000006B60: D8EC6500 A4000036
	ds_read_b64 v[166:167], v54 offset:25984                   // 000000006B68: D8EC6580 A6000036
	ds_read_b64 v[168:169], v54 offset:26880                   // 000000006B70: D8EC6900 A8000036
	ds_read_b64 v[170:171], v54 offset:27008                   // 000000006B78: D8EC6980 AA000036
	ds_read_b64 v[172:173], v54 offset:27904                   // 000000006B80: D8EC6D00 AC000036
	ds_read_b64 v[174:175], v54 offset:28032                   // 000000006B88: D8EC6D80 AE000036
	ds_read_b64 v[176:177], v54 offset:28928                   // 000000006B90: D8EC7100 B0000036
	ds_read_b64 v[178:179], v54 offset:29056                   // 000000006B98: D8EC7180 B2000036
	ds_read_b64 v[180:181], v54 offset:29952                   // 000000006BA0: D8EC7500 B4000036
	ds_read_b64 v[182:183], v54 offset:30080                   // 000000006BA8: D8EC7580 B6000036
	ds_read_b64 v[184:185], v54 offset:30976                   // 000000006BB0: D8EC7900 B8000036
	ds_read_b64 v[186:187], v54 offset:31104                   // 000000006BB8: D8EC7980 BA000036
	ds_read_b64 v[188:189], v54 offset:32000                   // 000000006BC0: D8EC7D00 BC000036
	ds_read_b64 v[190:191], v54 offset:32128                   // 000000006BC8: D8EC7D80 BE000036
	ds_read_b64 v[192:193], v54 offset:33024                   // 000000006BD0: D8EC8100 C0000036
	ds_read_b64 v[194:195], v54 offset:33152                   // 000000006BD8: D8EC8180 C2000036
	ds_read_b64 v[196:197], v54 offset:34048                   // 000000006BE0: D8EC8500 C4000036
	ds_read_b64 v[198:199], v54 offset:34176                   // 000000006BE8: D8EC8580 C6000036
	ds_read_b64 v[200:201], v54 offset:35072                   // 000000006BF0: D8EC8900 C8000036
	ds_read_b64 v[202:203], v54 offset:35200                   // 000000006BF8: D8EC8980 CA000036
	ds_read_b64 v[204:205], v54 offset:36096                   // 000000006C00: D8EC8D00 CC000036
	ds_read_b64 v[206:207], v54 offset:36224                   // 000000006C08: D8EC8D80 CE000036
	ds_read_b64 v[208:209], v54 offset:37120                   // 000000006C10: D8EC9100 D0000036
	ds_read_b64 v[210:211], v54 offset:37248                   // 000000006C18: D8EC9180 D2000036
	ds_read_b64 v[212:213], v54 offset:38144                   // 000000006C20: D8EC9500 D4000036
	ds_read_b64 v[214:215], v54 offset:38272                   // 000000006C28: D8EC9580 D6000036
	ds_read_b64 v[216:217], v54 offset:39168                   // 000000006C30: D8EC9900 D8000036
	ds_read_b64 v[218:219], v54 offset:39296                   // 000000006C38: D8EC9980 DA000036
	ds_read_b64 v[220:221], v54 offset:40192                   // 000000006C40: D8EC9D00 DC000036
	ds_read_b64 v[222:223], v54 offset:40320                   // 000000006C48: D8EC9D80 DE000036
	ds_read_b64 v[224:225], v54 offset:41216                   // 000000006C50: D8ECA100 E0000036
	ds_read_b64 v[226:227], v54 offset:41344                   // 000000006C58: D8ECA180 E2000036
	ds_read_b64 v[228:229], v54 offset:42240                   // 000000006C60: D8ECA500 E4000036
	ds_read_b64 v[230:231], v54 offset:42368                   // 000000006C68: D8ECA580 E6000036
	ds_read_b64 v[232:233], v54 offset:43264                   // 000000006C70: D8ECA900 E8000036
	ds_read_b64 v[234:235], v54 offset:43392                   // 000000006C78: D8ECA980 EA000036
	ds_read_b64 v[236:237], v54 offset:44288                   // 000000006C80: D8ECAD00 EC000036
	ds_read_b64 v[238:239], v54 offset:44416                   // 000000006C88: D8ECAD80 EE000036
	ds_read_b64 v[240:241], v54 offset:45312                   // 000000006C90: D8ECB100 F0000036
	ds_read_b64 v[242:243], v54 offset:45440                   // 000000006C98: D8ECB180 F2000036
	ds_read_b64 v[244:245], v54 offset:46336                   // 000000006CA0: D8ECB500 F4000036
	ds_read_b64 v[246:247], v54 offset:46464                   // 000000006CA8: D8ECB580 F6000036
	ds_read_b64 v[248:249], v54 offset:47360                   // 000000006CB0: D8ECB900 F8000036
	ds_read_b64 v[250:251], v54 offset:47488                   // 000000006CB8: D8ECB980 FA000036
	ds_read_b64 v[252:253], v54 offset:48384                   // 000000006CC0: D8ECBD00 FC000036
	ds_read_b64 v[254:255], v54 offset:48512                   // 000000006CC8: D8ECBD80 FE000036
	s_add_u32 s12, s56, s12                                    // 000000006CD0: 800C0C38
	s_addc_u32 s13, 0, s13                                     // 000000006CD4: 820D0D80
	v_mov_b32_e32 v64, 0                                       // 000000006CD8: 7E800280
	v_mov_b32_e32 v80, 0                                       // 000000006CDC: 7EA00280
	v_mov_b32_e32 v65, 0                                       // 000000006CE0: 7E820280
	v_mov_b32_e32 v81, 0                                       // 000000006CE4: 7EA20280
	v_mov_b32_e32 v66, 0                                       // 000000006CE8: 7E840280
	v_mov_b32_e32 v82, 0                                       // 000000006CEC: 7EA40280
	v_mov_b32_e32 v67, 0                                       // 000000006CF0: 7E860280
	v_mov_b32_e32 v83, 0                                       // 000000006CF4: 7EA60280
	v_mov_b32_e32 v68, 0                                       // 000000006CF8: 7E880280
	v_mov_b32_e32 v84, 0                                       // 000000006CFC: 7EA80280
	v_mov_b32_e32 v69, 0                                       // 000000006D00: 7E8A0280
	v_mov_b32_e32 v85, 0                                       // 000000006D04: 7EAA0280
	v_mov_b32_e32 v70, 0                                       // 000000006D08: 7E8C0280
	v_mov_b32_e32 v86, 0                                       // 000000006D0C: 7EAC0280
	v_mov_b32_e32 v71, 0                                       // 000000006D10: 7E8E0280
	v_mov_b32_e32 v87, 0                                       // 000000006D14: 7EAE0280
	ds_write_b64 v3, v[64:65] offset:16640                     // 000000006D18: D89A4100 00004003
	ds_write_b64 v3, v[66:67] offset:20992                     // 000000006D20: D89A5200 00004203
	ds_write_b64 v3, v[68:69] offset:18816                     // 000000006D28: D89A4980 00004403
	ds_write_b64 v3, v[70:71] offset:23168                     // 000000006D30: D89A5A80 00004603
	s_mov_b32 s80, 0                                           // 000000006D38: BED00080
	s_waitcnt vmcnt(24)                                        // 000000006D3C: BF8C4F78

0000000000006d40 <label_1782>:
	s_waitcnt vmcnt(30) lgkmcnt(0)                             // 000000006D40: BF8C407E
	s_barrier                                                  // 000000006D44: BF8A0000
	v_mfma_f32_16x16x16_f16 v[64:67], a[0:1], v[128:129], 0    // 000000006D48: D3CD0040 0A030100
	buffer_load_dwordx4 a[128:131], v18, s[12:15], 0 offen     // 000000006D50: E05C1000 80838012
	v_mfma_f32_16x16x16_f16 v[64:67], a[2:3], v[130:131], v[64:67]// 000000006D58: D3CD0040 0D030502
	ds_read_b32 v10, v4 offset:16640                           // 000000006D60: D86C4100 0A000004
	ds_read_b32 v11, v4 offset:16672                           // 000000006D68: D86C4120 0B000004
	v_mfma_f32_16x16x16_f16 v[64:67], a[4:5], v[132:133], v[64:67]// 000000006D70: D3CD0040 0D030904
	v_mfma_f32_16x16x16_f16 v[64:67], a[6:7], v[134:135], v[64:67]// 000000006D78: D3CD0040 0D030D06
	ds_read_b32 v12, v4 offset:16704                           // 000000006D80: D86C4140 0C000004
	ds_read_b32 v13, v4 offset:16736                           // 000000006D88: D86C4160 0D000004
	v_mfma_f32_16x16x16_f16 v[64:67], a[8:9], v[136:137], v[64:67]// 000000006D90: D3CD0040 0D031108
	buffer_load_dwordx4 a[132:135], v18, s[12:15], 0 offen offset:1024// 000000006D98: E05C1400 80838412
	v_mfma_f32_16x16x16_f16 v[64:67], a[10:11], v[138:139], v[64:67]// 000000006DA0: D3CD0040 0D03150A
	ds_read_b32 v14, v4 offset:20992                           // 000000006DA8: D86C5200 0E000004
	ds_read_b32 v15, v4 offset:21024                           // 000000006DB0: D86C5220 0F000004
	v_mfma_f32_16x16x16_f16 v[64:67], a[12:13], v[140:141], v[64:67]// 000000006DB8: D3CD0040 0D03190C
	v_mfma_f32_16x16x16_f16 v[64:67], a[14:15], v[142:143], v[64:67]// 000000006DC0: D3CD0040 0D031D0E
	ds_read_b32 v16, v4 offset:21056                           // 000000006DC8: D86C5240 10000004
	ds_read_b32 v17, v4 offset:21088                           // 000000006DD0: D86C5260 11000004
	v_mfma_f32_16x16x16_f16 v[68:71], a[0:1], v[192:193], 0    // 000000006DD8: D3CD0044 0A038100
	buffer_load_dwordx4 a[136:139], v18, s[12:15], 0 offen offset:2048// 000000006DE0: E05C1800 80838812
	v_mfma_f32_16x16x16_f16 v[68:71], a[2:3], v[194:195], v[68:71]// 000000006DE8: D3CD0044 0D138502
	v_mfma_f32_16x16x16_f16 v[68:71], a[4:5], v[196:197], v[68:71]// 000000006DF0: D3CD0044 0D138904
	v_mfma_f32_16x16x16_f16 v[68:71], a[6:7], v[198:199], v[68:71]// 000000006DF8: D3CD0044 0D138D06
	v_mfma_f32_16x16x16_f16 v[68:71], a[8:9], v[200:201], v[68:71]// 000000006E00: D3CD0044 0D139108
	buffer_load_dwordx4 a[140:143], v18, s[12:15], 0 offen offset:3072// 000000006E08: E05C1C00 80838C12
	v_mfma_f32_16x16x16_f16 v[68:71], a[10:11], v[202:203], v[68:71]// 000000006E10: D3CD0044 0D13950A
	v_mfma_f32_16x16x16_f16 v[68:71], a[12:13], v[204:205], v[68:71]// 000000006E18: D3CD0044 0D13990C
	s_waitcnt lgkmcnt(0)                                       // 000000006E20: BF8CC07F
	s_mov_b64 exec, s[16:17]                                   // 000000006E24: BEFE0110
	global_atomic_pk_add_f16 v34, v10, s[8:9]                  // 000000006E28: DD388000 00080A22
	s_mov_b64 exec, s[38:39]                                   // 000000006E30: BEFE0126
	v_mfma_f32_16x16x16_f16 v[68:71], a[14:15], v[206:207], v[68:71]// 000000006E34: D3CD0044 0D139D0E
	v_mfma_f32_16x16x16_f16 v[72:75], a[16:17], v[128:129], 0  // 000000006E3C: D3CD0048 0A030110
	buffer_load_dwordx4 a[144:147], v19, s[12:15], 0 offen     // 000000006E44: E05C1000 80839013
	v_mfma_f32_16x16x16_f16 v[72:75], a[18:19], v[130:131], v[72:75]// 000000006E4C: D3CD0048 0D230512
	v_mfma_f32_16x16x16_f16 v[72:75], a[20:21], v[132:133], v[72:75]// 000000006E54: D3CD0048 0D230914
	v_mfma_f32_16x16x16_f16 v[72:75], a[22:23], v[134:135], v[72:75]// 000000006E5C: D3CD0048 0D230D16
	v_mfma_f32_16x16x16_f16 v[72:75], a[24:25], v[136:137], v[72:75]// 000000006E64: D3CD0048 0D231118
	buffer_load_dwordx4 a[148:151], v19, s[12:15], 0 offen offset:1024// 000000006E6C: E05C1400 80839413
	v_mfma_f32_16x16x16_f16 v[72:75], a[26:27], v[138:139], v[72:75]// 000000006E74: D3CD0048 0D23151A
	v_mfma_f32_16x16x16_f16 v[72:75], a[28:29], v[140:141], v[72:75]// 000000006E7C: D3CD0048 0D23191C
	v_mfma_f32_16x16x16_f16 v[72:75], a[30:31], v[142:143], v[72:75]// 000000006E84: D3CD0048 0D231D1E
	v_mfma_f32_16x16x16_f16 v[76:79], a[16:17], v[192:193], 0  // 000000006E8C: D3CD004C 0A038110
	buffer_load_dwordx4 a[152:155], v19, s[12:15], 0 offen offset:2048// 000000006E94: E05C1800 80839813
	v_mfma_f32_16x16x16_f16 v[76:79], a[18:19], v[194:195], v[76:79]// 000000006E9C: D3CD004C 0D338512
	v_mfma_f32_16x16x16_f16 v[76:79], a[20:21], v[196:197], v[76:79]// 000000006EA4: D3CD004C 0D338914
	v_mfma_f32_16x16x16_f16 v[76:79], a[22:23], v[198:199], v[76:79]// 000000006EAC: D3CD004C 0D338D16
	v_mfma_f32_16x16x16_f16 v[76:79], a[24:25], v[200:201], v[76:79]// 000000006EB4: D3CD004C 0D339118
	buffer_load_dwordx4 a[156:159], v19, s[12:15], 0 offen offset:3072// 000000006EBC: E05C1C00 80839C13
	v_mfma_f32_16x16x16_f16 v[76:79], a[26:27], v[202:203], v[76:79]// 000000006EC4: D3CD004C 0D33951A
	v_mfma_f32_16x16x16_f16 v[76:79], a[28:29], v[204:205], v[76:79]// 000000006ECC: D3CD004C 0D33991C
	s_mov_b64 exec, s[18:19]                                   // 000000006ED4: BEFE0112
	global_atomic_pk_add_f16 v36, v11, s[8:9]                  // 000000006ED8: DD388000 00080B24
	s_mov_b64 exec, s[38:39]                                   // 000000006EE0: BEFE0126
	v_mfma_f32_16x16x16_f16 v[76:79], a[30:31], v[206:207], v[76:79]// 000000006EE4: D3CD004C 0D339D1E
	s_waitcnt vmcnt(30)                                        // 000000006EEC: BF8C4F7E
	v_mfma_f32_16x16x16_f16 v[64:67], a[32:33], v[144:145], v[64:67]// 000000006EF0: D3CD0040 0D032120
	buffer_load_dwordx4 a[160:163], v20, s[12:15], 0 offen     // 000000006EF8: E05C1000 8083A014
	v_mfma_f32_16x16x16_f16 v[64:67], a[34:35], v[146:147], v[64:67]// 000000006F00: D3CD0040 0D032522
	ds_write_b64 v3, v[80:81] offset:25344                     // 000000006F08: D89A6300 00005003
	v_mfma_f32_16x16x16_f16 v[64:67], a[36:37], v[148:149], v[64:67]// 000000006F10: D3CD0040 0D032924
	v_mfma_f32_16x16x16_f16 v[64:67], a[38:39], v[150:151], v[64:67]// 000000006F18: D3CD0040 0D032D26
	ds_write_b64 v3, v[82:83] offset:29696                     // 000000006F20: D89A7400 00005203
	v_mfma_f32_16x16x16_f16 v[64:67], a[40:41], v[152:153], v[64:67]// 000000006F28: D3CD0040 0D033128
	buffer_load_dwordx4 a[164:167], v20, s[12:15], 0 offen offset:1024// 000000006F30: E05C1400 8083A414
	v_mfma_f32_16x16x16_f16 v[64:67], a[42:43], v[154:155], v[64:67]// 000000006F38: D3CD0040 0D03352A
	ds_write_b64 v3, v[84:85] offset:27520                     // 000000006F40: D89A6B80 00005403
	v_mfma_f32_16x16x16_f16 v[64:67], a[44:45], v[156:157], v[64:67]// 000000006F48: D3CD0040 0D03392C
	v_mfma_f32_16x16x16_f16 v[64:67], a[46:47], v[158:159], v[64:67]// 000000006F50: D3CD0040 0D033D2E
	ds_write_b64 v3, v[86:87] offset:31872                     // 000000006F58: D89A7C80 00005603
	v_mfma_f32_16x16x16_f16 v[68:71], a[32:33], v[208:209], v[68:71]// 000000006F60: D3CD0044 0D13A120
	buffer_load_dwordx4 a[168:171], v20, s[12:15], 0 offen offset:2048// 000000006F68: E05C1800 8083A814
	v_mfma_f32_16x16x16_f16 v[68:71], a[34:35], v[210:211], v[68:71]// 000000006F70: D3CD0044 0D13A522
	v_mfma_f32_16x16x16_f16 v[68:71], a[36:37], v[212:213], v[68:71]// 000000006F78: D3CD0044 0D13A924
	v_mfma_f32_16x16x16_f16 v[68:71], a[38:39], v[214:215], v[68:71]// 000000006F80: D3CD0044 0D13AD26
	v_mfma_f32_16x16x16_f16 v[68:71], a[40:41], v[216:217], v[68:71]// 000000006F88: D3CD0044 0D13B128
	buffer_load_dwordx4 a[172:175], v20, s[12:15], 0 offen offset:3072// 000000006F90: E05C1C00 8083AC14
	v_mfma_f32_16x16x16_f16 v[68:71], a[42:43], v[218:219], v[68:71]// 000000006F98: D3CD0044 0D13B52A
	v_mfma_f32_16x16x16_f16 v[68:71], a[44:45], v[220:221], v[68:71]// 000000006FA0: D3CD0044 0D13B92C
	s_mov_b64 exec, s[20:21]                                   // 000000006FA8: BEFE0114
	global_atomic_pk_add_f16 v38, v12, s[8:9]                  // 000000006FAC: DD388000 00080C26
	s_mov_b64 exec, s[38:39]                                   // 000000006FB4: BEFE0126
	v_mfma_f32_16x16x16_f16 v[68:71], a[46:47], v[222:223], v[68:71]// 000000006FB8: D3CD0044 0D13BD2E
	v_mfma_f32_16x16x16_f16 v[72:75], a[48:49], v[144:145], v[72:75]// 000000006FC0: D3CD0048 0D232130
	buffer_load_dwordx4 a[176:179], v21, s[12:15], 0 offen     // 000000006FC8: E05C1000 8083B015
	v_mfma_f32_16x16x16_f16 v[72:75], a[50:51], v[146:147], v[72:75]// 000000006FD0: D3CD0048 0D232532
	v_mfma_f32_16x16x16_f16 v[72:75], a[52:53], v[148:149], v[72:75]// 000000006FD8: D3CD0048 0D232934
	v_mfma_f32_16x16x16_f16 v[72:75], a[54:55], v[150:151], v[72:75]// 000000006FE0: D3CD0048 0D232D36
	v_mfma_f32_16x16x16_f16 v[72:75], a[56:57], v[152:153], v[72:75]// 000000006FE8: D3CD0048 0D233138
	buffer_load_dwordx4 a[180:183], v21, s[12:15], 0 offen offset:1024// 000000006FF0: E05C1400 8083B415
	v_mfma_f32_16x16x16_f16 v[72:75], a[58:59], v[154:155], v[72:75]// 000000006FF8: D3CD0048 0D23353A
	v_mfma_f32_16x16x16_f16 v[72:75], a[60:61], v[156:157], v[72:75]// 000000007000: D3CD0048 0D23393C
	v_mfma_f32_16x16x16_f16 v[72:75], a[62:63], v[158:159], v[72:75]// 000000007008: D3CD0048 0D233D3E
	v_mfma_f32_16x16x16_f16 v[76:79], a[48:49], v[208:209], v[76:79]// 000000007010: D3CD004C 0D33A130
	buffer_load_dwordx4 a[184:187], v21, s[12:15], 0 offen offset:2048// 000000007018: E05C1800 8083B815
	v_mfma_f32_16x16x16_f16 v[76:79], a[50:51], v[210:211], v[76:79]// 000000007020: D3CD004C 0D33A532
	v_mfma_f32_16x16x16_f16 v[76:79], a[52:53], v[212:213], v[76:79]// 000000007028: D3CD004C 0D33A934
	v_mfma_f32_16x16x16_f16 v[76:79], a[54:55], v[214:215], v[76:79]// 000000007030: D3CD004C 0D33AD36
	v_mfma_f32_16x16x16_f16 v[76:79], a[56:57], v[216:217], v[76:79]// 000000007038: D3CD004C 0D33B138
	buffer_load_dwordx4 a[188:191], v21, s[12:15], 0 offen offset:3072// 000000007040: E05C1C00 8083BC15
	v_mfma_f32_16x16x16_f16 v[76:79], a[58:59], v[218:219], v[76:79]// 000000007048: D3CD004C 0D33B53A
	v_mfma_f32_16x16x16_f16 v[76:79], a[60:61], v[220:221], v[76:79]// 000000007050: D3CD004C 0D33B93C
	s_mov_b64 exec, s[22:23]                                   // 000000007058: BEFE0116
	global_atomic_pk_add_f16 v40, v13, s[8:9]                  // 00000000705C: DD388000 00080D28
	s_mov_b64 exec, s[38:39]                                   // 000000007064: BEFE0126
	v_mfma_f32_16x16x16_f16 v[76:79], a[62:63], v[222:223], v[76:79]// 000000007068: D3CD004C 0D33BD3E
	s_waitcnt vmcnt(30)                                        // 000000007070: BF8C4F7E
	v_mfma_f32_16x16x16_f16 v[64:67], a[64:65], v[160:161], v[64:67]// 000000007074: D3CD0040 0D034140
	buffer_load_dwordx4 a[192:195], v22, s[12:15], 0 offen     // 00000000707C: E05C1000 8083C016
	v_mfma_f32_16x16x16_f16 v[64:67], a[66:67], v[162:163], v[64:67]// 000000007084: D3CD0040 0D034542
	v_mfma_f32_16x16x16_f16 v[64:67], a[68:69], v[164:165], v[64:67]// 00000000708C: D3CD0040 0D034944
	s_add_u32 s60, 0x100, s80                                  // 000000007094: 803C50FF 00000100
	s_cmp_lt_u32 s60, s81                                      // 00000000709C: BF0A513C
	s_cselect_b32 s56, s56, 0                                  // 0000000070A0: 85388038
	v_mfma_f32_16x16x16_f16 v[64:67], a[70:71], v[166:167], v[64:67]// 0000000070A4: D3CD0040 0D034D46
	v_mfma_f32_16x16x16_f16 v[64:67], a[72:73], v[168:169], v[64:67]// 0000000070AC: D3CD0040 0D035148
	buffer_load_dwordx4 a[196:199], v22, s[12:15], 0 offen offset:1024// 0000000070B4: E05C1400 8083C416
	v_mfma_f32_16x16x16_f16 v[64:67], a[74:75], v[170:171], v[64:67]// 0000000070BC: D3CD0040 0D03554A
	v_mfma_f32_16x16x16_f16 v[64:67], a[76:77], v[172:173], v[64:67]// 0000000070C4: D3CD0040 0D03594C
	s_cmp_ge_u32 s80, 0x100                                    // 0000000070CC: BF09FF50 00000100
	s_cselect_b32 s59, 0x100, s59                              // 0000000070D4: 853B3BFF 00000100
	v_mfma_f32_16x16x16_f16 v[64:67], a[78:79], v[174:175], v[64:67]// 0000000070DC: D3CD0040 0D035D4E
	v_mfma_f32_16x16x16_f16 v[68:71], a[64:65], v[224:225], v[68:71]// 0000000070E4: D3CD0044 0D13C140
	buffer_load_dwordx4 a[200:203], v22, s[12:15], 0 offen offset:2048// 0000000070EC: E05C1800 8083C816
	v_mfma_f32_16x16x16_f16 v[68:71], a[66:67], v[226:227], v[68:71]// 0000000070F4: D3CD0044 0D13C542
	v_mfma_f32_16x16x16_f16 v[68:71], a[68:69], v[228:229], v[68:71]// 0000000070FC: D3CD0044 0D13C944
	s_add_u32 s16, s57, s16                                    // 000000007104: 80101039
	s_addc_u32 s17, 0, s17                                     // 000000007108: 82111180
	v_mfma_f32_16x16x16_f16 v[68:71], a[70:71], v[230:231], v[68:71]// 00000000710C: D3CD0044 0D13CD46
	v_mfma_f32_16x16x16_f16 v[68:71], a[72:73], v[232:233], v[68:71]// 000000007114: D3CD0044 0D13D148
	buffer_load_dwordx4 a[204:207], v22, s[12:15], 0 offen offset:3072// 00000000711C: E05C1C00 8083CC16
	v_mfma_f32_16x16x16_f16 v[68:71], a[74:75], v[234:235], v[68:71]// 000000007124: D3CD0044 0D13D54A
	v_mfma_f32_16x16x16_f16 v[68:71], a[76:77], v[236:237], v[68:71]// 00000000712C: D3CD0044 0D13D94C
	s_mov_b64 exec, s[24:25]                                   // 000000007134: BEFE0118
	global_atomic_pk_add_f16 v42, v14, s[8:9]                  // 000000007138: DD388000 00080E2A
	s_mov_b64 exec, s[38:39]                                   // 000000007140: BEFE0126
	v_mfma_f32_16x16x16_f16 v[68:71], a[78:79], v[238:239], v[68:71]// 000000007144: D3CD0044 0D13DD4E
	v_mfma_f32_16x16x16_f16 v[72:75], a[80:81], v[160:161], v[72:75]// 00000000714C: D3CD0048 0D234150
	buffer_load_dwordx4 a[208:211], v23, s[12:15], 0 offen     // 000000007154: E05C1000 8083D017
	v_mfma_f32_16x16x16_f16 v[72:75], a[82:83], v[162:163], v[72:75]// 00000000715C: D3CD0048 0D234552
	v_mfma_f32_16x16x16_f16 v[72:75], a[84:85], v[164:165], v[72:75]// 000000007164: D3CD0048 0D234954
	v_mfma_f32_16x16x16_f16 v[72:75], a[86:87], v[166:167], v[72:75]// 00000000716C: D3CD0048 0D234D56
	v_mfma_f32_16x16x16_f16 v[72:75], a[88:89], v[168:169], v[72:75]// 000000007174: D3CD0048 0D235158
	buffer_load_dwordx4 a[212:215], v23, s[12:15], 0 offen offset:1024// 00000000717C: E05C1400 8083D417
	v_mfma_f32_16x16x16_f16 v[72:75], a[90:91], v[170:171], v[72:75]// 000000007184: D3CD0048 0D23555A
	v_mfma_f32_16x16x16_f16 v[72:75], a[92:93], v[172:173], v[72:75]// 00000000718C: D3CD0048 0D23595C
	v_mfma_f32_16x16x16_f16 v[72:75], a[94:95], v[174:175], v[72:75]// 000000007194: D3CD0048 0D235D5E
	v_mfma_f32_16x16x16_f16 v[76:79], a[80:81], v[224:225], v[76:79]// 00000000719C: D3CD004C 0D33C150
	buffer_load_dwordx4 a[216:219], v23, s[12:15], 0 offen offset:2048// 0000000071A4: E05C1800 8083D817
	v_mfma_f32_16x16x16_f16 v[76:79], a[82:83], v[226:227], v[76:79]// 0000000071AC: D3CD004C 0D33C552
	v_mfma_f32_16x16x16_f16 v[76:79], a[84:85], v[228:229], v[76:79]// 0000000071B4: D3CD004C 0D33C954
	v_mfma_f32_16x16x16_f16 v[76:79], a[86:87], v[230:231], v[76:79]// 0000000071BC: D3CD004C 0D33CD56
	v_mfma_f32_16x16x16_f16 v[76:79], a[88:89], v[232:233], v[76:79]// 0000000071C4: D3CD004C 0D33D158
	buffer_load_dwordx4 a[220:223], v23, s[12:15], 0 offen offset:3072// 0000000071CC: E05C1C00 8083DC17
	v_mfma_f32_16x16x16_f16 v[76:79], a[90:91], v[234:235], v[76:79]// 0000000071D4: D3CD004C 0D33D55A
	v_mfma_f32_16x16x16_f16 v[76:79], a[92:93], v[236:237], v[76:79]// 0000000071DC: D3CD004C 0D33D95C
	s_mov_b64 exec, s[26:27]                                   // 0000000071E4: BEFE011A
	global_atomic_pk_add_f16 v44, v15, s[8:9]                  // 0000000071E8: DD388000 00080F2C
	s_mov_b64 exec, s[38:39]                                   // 0000000071F0: BEFE0126
	v_mfma_f32_16x16x16_f16 v[76:79], a[94:95], v[238:239], v[76:79]// 0000000071F4: D3CD004C 0D33DD5E
	s_waitcnt vmcnt(30)                                        // 0000000071FC: BF8C4F7E
	v_mfma_f32_16x16x16_f16 v[64:67], a[96:97], v[176:177], v[64:67]// 000000007200: D3CD0040 0D036160
	buffer_load_dwordx4 a[224:227], v24, s[12:15], 0 offen     // 000000007208: E05C1000 8083E018
	v_mfma_f32_16x16x16_f16 v[64:67], a[98:99], v[178:179], v[64:67]// 000000007210: D3CD0040 0D036562
	v_mfma_f32_16x16x16_f16 v[64:67], a[100:101], v[180:181], v[64:67]// 000000007218: D3CD0040 0D036964
	v_mfma_f32_16x16x16_f16 v[64:67], a[102:103], v[182:183], v[64:67]// 000000007220: D3CD0040 0D036D66
	v_mfma_f32_16x16x16_f16 v[64:67], a[104:105], v[184:185], v[64:67]// 000000007228: D3CD0040 0D037168
	buffer_load_dwordx4 a[228:231], v24, s[12:15], 0 offen offset:1024// 000000007230: E05C1400 8083E418
	v_mfma_f32_16x16x16_f16 v[64:67], a[106:107], v[186:187], v[64:67]// 000000007238: D3CD0040 0D03756A
	v_mfma_f32_16x16x16_f16 v[64:67], a[108:109], v[188:189], v[64:67]// 000000007240: D3CD0040 0D03796C
	v_mfma_f32_16x16x16_f16 v[64:67], a[110:111], v[190:191], v[64:67]// 000000007248: D3CD0040 0D037D6E
	v_mfma_f32_16x16x16_f16 v[68:71], a[96:97], v[240:241], v[68:71]// 000000007250: D3CD0044 0D13E160
	buffer_load_dwordx4 a[232:235], v24, s[12:15], 0 offen offset:2048// 000000007258: E05C1800 8083E818
	v_mfma_f32_16x16x16_f16 v[68:71], a[98:99], v[242:243], v[68:71]// 000000007260: D3CD0044 0D13E562
	v_mfma_f32_16x16x16_f16 v[68:71], a[100:101], v[244:245], v[68:71]// 000000007268: D3CD0044 0D13E964
	v_mfma_f32_16x16x16_f16 v[68:71], a[102:103], v[246:247], v[68:71]// 000000007270: D3CD0044 0D13ED66
	v_mfma_f32_16x16x16_f16 v[68:71], a[104:105], v[248:249], v[68:71]// 000000007278: D3CD0044 0D13F168
	buffer_load_dwordx4 a[236:239], v24, s[12:15], 0 offen offset:3072// 000000007280: E05C1C00 8083EC18
	v_mfma_f32_16x16x16_f16 v[68:71], a[106:107], v[250:251], v[68:71]// 000000007288: D3CD0044 0D13F56A
	v_mfma_f32_16x16x16_f16 v[68:71], a[108:109], v[252:253], v[68:71]// 000000007290: D3CD0044 0D13F96C
	s_mov_b64 exec, s[28:29]                                   // 000000007298: BEFE011C
	global_atomic_pk_add_f16 v46, v16, s[8:9]                  // 00000000729C: DD388000 0008102E
	s_mov_b64 exec, s[38:39]                                   // 0000000072A4: BEFE0126
	v_mfma_f32_16x16x16_f16 v[68:71], a[110:111], v[254:255], v[68:71]// 0000000072A8: D3CD0044 0D13FD6E
	v_mfma_f32_16x16x16_f16 v[72:75], a[112:113], v[176:177], v[72:75]// 0000000072B0: D3CD0048 0D236170
	buffer_load_dwordx4 a[240:243], v25, s[12:15], 0 offen     // 0000000072B8: E05C1000 8083F019
	v_mfma_f32_16x16x16_f16 v[72:75], a[114:115], v[178:179], v[72:75]// 0000000072C0: D3CD0048 0D236572
	v_mfma_f32_16x16x16_f16 v[72:75], a[116:117], v[180:181], v[72:75]// 0000000072C8: D3CD0048 0D236974
	v_mfma_f32_16x16x16_f16 v[72:75], a[118:119], v[182:183], v[72:75]// 0000000072D0: D3CD0048 0D236D76
	v_mfma_f32_16x16x16_f16 v[72:75], a[120:121], v[184:185], v[72:75]// 0000000072D8: D3CD0048 0D237178
	buffer_load_dwordx4 a[244:247], v25, s[12:15], 0 offen offset:1024// 0000000072E0: E05C1400 8083F419
	v_mfma_f32_16x16x16_f16 v[72:75], a[122:123], v[186:187], v[72:75]// 0000000072E8: D3CD0048 0D23757A
	v_mfma_f32_16x16x16_f16 v[72:75], a[124:125], v[188:189], v[72:75]// 0000000072F0: D3CD0048 0D23797C
	v_mfma_f32_16x16x16_f16 v[72:75], a[126:127], v[190:191], v[72:75]// 0000000072F8: D3CD0048 0D237D7E
	v_mfma_f32_16x16x16_f16 v[76:79], a[112:113], v[240:241], v[76:79]// 000000007300: D3CD004C 0D33E170
	buffer_load_dwordx4 a[248:251], v25, s[12:15], 0 offen offset:2048// 000000007308: E05C1800 8083F819
	v_mfma_f32_16x16x16_f16 v[76:79], a[114:115], v[242:243], v[76:79]// 000000007310: D3CD004C 0D33E572
	v_mfma_f32_16x16x16_f16 v[76:79], a[116:117], v[244:245], v[76:79]// 000000007318: D3CD004C 0D33E974
	v_mfma_f32_16x16x16_f16 v[76:79], a[118:119], v[246:247], v[76:79]// 000000007320: D3CD004C 0D33ED76
	v_mfma_f32_16x16x16_f16 v[76:79], a[120:121], v[248:249], v[76:79]// 000000007328: D3CD004C 0D33F178
	buffer_load_dwordx4 a[252:255], v25, s[12:15], 0 offen offset:3072// 000000007330: E05C1C00 8083FC19
	v_mfma_f32_16x16x16_f16 v[76:79], a[122:123], v[250:251], v[76:79]// 000000007338: D3CD004C 0D33F57A
	v_mfma_f32_16x16x16_f16 v[76:79], a[124:125], v[252:253], v[76:79]// 000000007340: D3CD004C 0D33F97C
	s_mov_b64 exec, s[30:31]                                   // 000000007348: BEFE011E
	global_atomic_pk_add_f16 v48, v17, s[8:9]                  // 00000000734C: DD388000 00081130
	s_mov_b64 exec, s[38:39]                                   // 000000007354: BEFE0126
	s_add_u32 s12, s56, s12                                    // 000000007358: 800C0C38
	s_addc_u32 s13, 0, s13                                     // 00000000735C: 820D0D80
	v_mfma_f32_16x16x16_f16 v[76:79], a[126:127], v[254:255], v[76:79]// 000000007360: D3CD004C 0D33FD7E
	s_add_u32 s8, s59, s8                                      // 000000007368: 8008083B
	s_addc_u32 s9, 0, s9                                       // 00000000736C: 82090980
	v_mul_f32_e32 v64, v8, v64                                 // 000000007370: 0A808108
	v_mul_f32_e32 v65, v8, v65                                 // 000000007374: 0A828308
	v_mul_f32_e32 v66, v8, v66                                 // 000000007378: 0A848508
	v_mul_f32_e32 v67, v8, v67                                 // 00000000737C: 0A868708
	v_mul_f32_e32 v68, v9, v68                                 // 000000007380: 0A888909
	v_mul_f32_e32 v69, v9, v69                                 // 000000007384: 0A8A8B09
	v_mul_f32_e32 v70, v9, v70                                 // 000000007388: 0A8C8D09
	v_mul_f32_e32 v71, v9, v71                                 // 00000000738C: 0A8E8F09
	v_mul_f32_e32 v72, v8, v72                                 // 000000007390: 0A909108
	v_mul_f32_e32 v73, v8, v73                                 // 000000007394: 0A929308
	v_mul_f32_e32 v74, v8, v74                                 // 000000007398: 0A949508
	v_mul_f32_e32 v75, v8, v75                                 // 00000000739C: 0A969708
	v_mul_f32_e32 v76, v9, v76                                 // 0000000073A0: 0A989909
	v_mul_f32_e32 v77, v9, v77                                 // 0000000073A4: 0A9A9B09
	v_mul_f32_e32 v78, v9, v78                                 // 0000000073A8: 0A9C9D09
	v_mul_f32_e32 v79, v9, v79                                 // 0000000073AC: 0A9E9F09
	v_cvt_f16_f32_e32 v64, v64                                 // 0000000073B0: 7E801540
	v_cvt_f16_f32_sdwa v64, v65 dst_sel:WORD_1 dst_unused:UNUSED_PRESERVE src0_sel:DWORD// 0000000073B4: 7E8014F9 00061541
	v_cvt_f16_f32_e32 v65, v66                                 // 0000000073BC: 7E821542
	v_cvt_f16_f32_sdwa v65, v67 dst_sel:WORD_1 dst_unused:UNUSED_PRESERVE src0_sel:DWORD// 0000000073C0: 7E8214F9 00061543
	v_cvt_f16_f32_e32 v66, v68                                 // 0000000073C8: 7E841544
	v_cvt_f16_f32_sdwa v66, v69 dst_sel:WORD_1 dst_unused:UNUSED_PRESERVE src0_sel:DWORD// 0000000073CC: 7E8414F9 00061545
	v_cvt_f16_f32_e32 v67, v70                                 // 0000000073D4: 7E861546
	v_cvt_f16_f32_sdwa v67, v71 dst_sel:WORD_1 dst_unused:UNUSED_PRESERVE src0_sel:DWORD// 0000000073D8: 7E8614F9 00061547
	v_cvt_f16_f32_e32 v68, v72                                 // 0000000073E0: 7E881548
	v_cvt_f16_f32_sdwa v68, v73 dst_sel:WORD_1 dst_unused:UNUSED_PRESERVE src0_sel:DWORD// 0000000073E4: 7E8814F9 00061549
	v_cvt_f16_f32_e32 v69, v74                                 // 0000000073EC: 7E8A154A
	v_cvt_f16_f32_sdwa v69, v75 dst_sel:WORD_1 dst_unused:UNUSED_PRESERVE src0_sel:DWORD// 0000000073F0: 7E8A14F9 0006154B
	v_cvt_f16_f32_e32 v70, v76                                 // 0000000073F8: 7E8C154C
	v_cvt_f16_f32_sdwa v70, v77 dst_sel:WORD_1 dst_unused:UNUSED_PRESERVE src0_sel:DWORD// 0000000073FC: 7E8C14F9 0006154D
	v_cvt_f16_f32_e32 v71, v78                                 // 000000007404: 7E8E154E
	v_cvt_f16_f32_sdwa v71, v79 dst_sel:WORD_1 dst_unused:UNUSED_PRESERVE src0_sel:DWORD// 000000007408: 7E8E14F9 0006154F
	s_addk_i32 s80, 0x80                                       // 000000007410: B7500080
	s_cmp_lt_i32 s80, s81                                      // 000000007414: BF045150
	s_cbranch_scc0 label_0ED8                                  // 000000007418: BF84F6FF
	s_waitcnt vmcnt(30) lgkmcnt(0)                             // 00000000741C: BF8C407E
	s_barrier                                                  // 000000007420: BF8A0000
	v_mfma_f32_16x16x16_f16 v[80:83], a[128:129], v[128:129], 0// 000000007424: D3CD0050 0A030180
	buffer_load_dwordx4 a[0:3], v18, s[12:15], 0 offen         // 00000000742C: E05C1000 80830012
	v_mfma_f32_16x16x16_f16 v[80:83], a[130:131], v[130:131], v[80:83]// 000000007434: D3CD0050 0D430582
	ds_read_b32 v10, v4 offset:25344                           // 00000000743C: D86C6300 0A000004
	ds_read_b32 v11, v4 offset:25376                           // 000000007444: D86C6320 0B000004
	v_mfma_f32_16x16x16_f16 v[80:83], a[132:133], v[132:133], v[80:83]// 00000000744C: D3CD0050 0D430984
	v_mfma_f32_16x16x16_f16 v[80:83], a[134:135], v[134:135], v[80:83]// 000000007454: D3CD0050 0D430D86
	ds_read_b32 v12, v4 offset:25408                           // 00000000745C: D86C6340 0C000004
	ds_read_b32 v13, v4 offset:25440                           // 000000007464: D86C6360 0D000004
	v_mfma_f32_16x16x16_f16 v[80:83], a[136:137], v[136:137], v[80:83]// 00000000746C: D3CD0050 0D431188
	buffer_load_dwordx4 a[4:7], v18, s[12:15], 0 offen offset:1024// 000000007474: E05C1400 80830412
	v_mfma_f32_16x16x16_f16 v[80:83], a[138:139], v[138:139], v[80:83]// 00000000747C: D3CD0050 0D43158A
	ds_read_b32 v14, v4 offset:29696                           // 000000007484: D86C7400 0E000004
	ds_read_b32 v15, v4 offset:29728                           // 00000000748C: D86C7420 0F000004
	v_mfma_f32_16x16x16_f16 v[80:83], a[140:141], v[140:141], v[80:83]// 000000007494: D3CD0050 0D43198C
	v_mfma_f32_16x16x16_f16 v[80:83], a[142:143], v[142:143], v[80:83]// 00000000749C: D3CD0050 0D431D8E
	ds_read_b32 v16, v4 offset:29760                           // 0000000074A4: D86C7440 10000004
	ds_read_b32 v17, v4 offset:29792                           // 0000000074AC: D86C7460 11000004
	v_mfma_f32_16x16x16_f16 v[84:87], a[128:129], v[192:193], 0// 0000000074B4: D3CD0054 0A038180
	buffer_load_dwordx4 a[8:11], v18, s[12:15], 0 offen offset:2048// 0000000074BC: E05C1800 80830812
	v_mfma_f32_16x16x16_f16 v[84:87], a[130:131], v[194:195], v[84:87]// 0000000074C4: D3CD0054 0D538582
	v_mfma_f32_16x16x16_f16 v[84:87], a[132:133], v[196:197], v[84:87]// 0000000074CC: D3CD0054 0D538984
	v_mfma_f32_16x16x16_f16 v[84:87], a[134:135], v[198:199], v[84:87]// 0000000074D4: D3CD0054 0D538D86
	v_mfma_f32_16x16x16_f16 v[84:87], a[136:137], v[200:201], v[84:87]// 0000000074DC: D3CD0054 0D539188
	buffer_load_dwordx4 a[12:15], v18, s[12:15], 0 offen offset:3072// 0000000074E4: E05C1C00 80830C12
	v_mfma_f32_16x16x16_f16 v[84:87], a[138:139], v[202:203], v[84:87]// 0000000074EC: D3CD0054 0D53958A
	v_mfma_f32_16x16x16_f16 v[84:87], a[140:141], v[204:205], v[84:87]// 0000000074F4: D3CD0054 0D53998C
	s_waitcnt lgkmcnt(0)                                       // 0000000074FC: BF8CC07F
	s_mov_b64 exec, s[16:17]                                   // 000000007500: BEFE0110
	global_atomic_pk_add_f16 v34, v10, s[8:9]                  // 000000007504: DD388000 00080A22
	s_mov_b64 exec, s[38:39]                                   // 00000000750C: BEFE0126
	v_mfma_f32_16x16x16_f16 v[84:87], a[142:143], v[206:207], v[84:87]// 000000007510: D3CD0054 0D539D8E
	v_mfma_f32_16x16x16_f16 v[88:91], a[144:145], v[128:129], 0// 000000007518: D3CD0058 0A030190
	buffer_load_dwordx4 a[16:19], v19, s[12:15], 0 offen       // 000000007520: E05C1000 80831013
	v_mfma_f32_16x16x16_f16 v[88:91], a[146:147], v[130:131], v[88:91]// 000000007528: D3CD0058 0D630592
	v_mfma_f32_16x16x16_f16 v[88:91], a[148:149], v[132:133], v[88:91]// 000000007530: D3CD0058 0D630994
	v_mfma_f32_16x16x16_f16 v[88:91], a[150:151], v[134:135], v[88:91]// 000000007538: D3CD0058 0D630D96
	v_mfma_f32_16x16x16_f16 v[88:91], a[152:153], v[136:137], v[88:91]// 000000007540: D3CD0058 0D631198
	buffer_load_dwordx4 a[20:23], v19, s[12:15], 0 offen offset:1024// 000000007548: E05C1400 80831413
	v_mfma_f32_16x16x16_f16 v[88:91], a[154:155], v[138:139], v[88:91]// 000000007550: D3CD0058 0D63159A
	v_mfma_f32_16x16x16_f16 v[88:91], a[156:157], v[140:141], v[88:91]// 000000007558: D3CD0058 0D63199C
	v_mfma_f32_16x16x16_f16 v[88:91], a[158:159], v[142:143], v[88:91]// 000000007560: D3CD0058 0D631D9E
	v_mfma_f32_16x16x16_f16 v[92:95], a[144:145], v[192:193], 0// 000000007568: D3CD005C 0A038190
	buffer_load_dwordx4 a[24:27], v19, s[12:15], 0 offen offset:2048// 000000007570: E05C1800 80831813
	v_mfma_f32_16x16x16_f16 v[92:95], a[146:147], v[194:195], v[92:95]// 000000007578: D3CD005C 0D738592
	v_mfma_f32_16x16x16_f16 v[92:95], a[148:149], v[196:197], v[92:95]// 000000007580: D3CD005C 0D738994
	v_mfma_f32_16x16x16_f16 v[92:95], a[150:151], v[198:199], v[92:95]// 000000007588: D3CD005C 0D738D96
	v_mfma_f32_16x16x16_f16 v[92:95], a[152:153], v[200:201], v[92:95]// 000000007590: D3CD005C 0D739198
	buffer_load_dwordx4 a[28:31], v19, s[12:15], 0 offen offset:3072// 000000007598: E05C1C00 80831C13
	v_mfma_f32_16x16x16_f16 v[92:95], a[154:155], v[202:203], v[92:95]// 0000000075A0: D3CD005C 0D73959A
	v_mfma_f32_16x16x16_f16 v[92:95], a[156:157], v[204:205], v[92:95]// 0000000075A8: D3CD005C 0D73999C
	s_mov_b64 exec, s[18:19]                                   // 0000000075B0: BEFE0112
	global_atomic_pk_add_f16 v36, v11, s[8:9]                  // 0000000075B4: DD388000 00080B24
	s_mov_b64 exec, s[38:39]                                   // 0000000075BC: BEFE0126
	v_mfma_f32_16x16x16_f16 v[92:95], a[158:159], v[206:207], v[92:95]// 0000000075C0: D3CD005C 0D739D9E
	s_waitcnt vmcnt(30)                                        // 0000000075C8: BF8C4F7E
	v_mfma_f32_16x16x16_f16 v[80:83], a[160:161], v[144:145], v[80:83]// 0000000075CC: D3CD0050 0D4321A0
	buffer_load_dwordx4 a[32:35], v20, s[12:15], 0 offen       // 0000000075D4: E05C1000 80832014
	v_mfma_f32_16x16x16_f16 v[80:83], a[162:163], v[146:147], v[80:83]// 0000000075DC: D3CD0050 0D4325A2
	ds_write_b64 v3, v[64:65] offset:16640                     // 0000000075E4: D89A4100 00004003
	v_mfma_f32_16x16x16_f16 v[80:83], a[164:165], v[148:149], v[80:83]// 0000000075EC: D3CD0050 0D4329A4
	v_mfma_f32_16x16x16_f16 v[80:83], a[166:167], v[150:151], v[80:83]// 0000000075F4: D3CD0050 0D432DA6
	ds_write_b64 v3, v[66:67] offset:20992                     // 0000000075FC: D89A5200 00004203
	v_mfma_f32_16x16x16_f16 v[80:83], a[168:169], v[152:153], v[80:83]// 000000007604: D3CD0050 0D4331A8
	buffer_load_dwordx4 a[36:39], v20, s[12:15], 0 offen offset:1024// 00000000760C: E05C1400 80832414
	v_mfma_f32_16x16x16_f16 v[80:83], a[170:171], v[154:155], v[80:83]// 000000007614: D3CD0050 0D4335AA
	ds_write_b64 v3, v[68:69] offset:18816                     // 00000000761C: D89A4980 00004403
	v_mfma_f32_16x16x16_f16 v[80:83], a[172:173], v[156:157], v[80:83]// 000000007624: D3CD0050 0D4339AC
	v_mfma_f32_16x16x16_f16 v[80:83], a[174:175], v[158:159], v[80:83]// 00000000762C: D3CD0050 0D433DAE
	ds_write_b64 v3, v[70:71] offset:23168                     // 000000007634: D89A5A80 00004603
	v_mfma_f32_16x16x16_f16 v[84:87], a[160:161], v[208:209], v[84:87]// 00000000763C: D3CD0054 0D53A1A0
	buffer_load_dwordx4 a[40:43], v20, s[12:15], 0 offen offset:2048// 000000007644: E05C1800 80832814
	v_mfma_f32_16x16x16_f16 v[84:87], a[162:163], v[210:211], v[84:87]// 00000000764C: D3CD0054 0D53A5A2
	v_mfma_f32_16x16x16_f16 v[84:87], a[164:165], v[212:213], v[84:87]// 000000007654: D3CD0054 0D53A9A4
	v_mfma_f32_16x16x16_f16 v[84:87], a[166:167], v[214:215], v[84:87]// 00000000765C: D3CD0054 0D53ADA6
	v_mfma_f32_16x16x16_f16 v[84:87], a[168:169], v[216:217], v[84:87]// 000000007664: D3CD0054 0D53B1A8
	buffer_load_dwordx4 a[44:47], v20, s[12:15], 0 offen offset:3072// 00000000766C: E05C1C00 80832C14
	v_mfma_f32_16x16x16_f16 v[84:87], a[170:171], v[218:219], v[84:87]// 000000007674: D3CD0054 0D53B5AA
	v_mfma_f32_16x16x16_f16 v[84:87], a[172:173], v[220:221], v[84:87]// 00000000767C: D3CD0054 0D53B9AC
	s_mov_b64 exec, s[20:21]                                   // 000000007684: BEFE0114
	global_atomic_pk_add_f16 v38, v12, s[8:9]                  // 000000007688: DD388000 00080C26
	s_mov_b64 exec, s[38:39]                                   // 000000007690: BEFE0126
	v_mfma_f32_16x16x16_f16 v[84:87], a[174:175], v[222:223], v[84:87]// 000000007694: D3CD0054 0D53BDAE
	v_mfma_f32_16x16x16_f16 v[88:91], a[176:177], v[144:145], v[88:91]// 00000000769C: D3CD0058 0D6321B0
	buffer_load_dwordx4 a[48:51], v21, s[12:15], 0 offen       // 0000000076A4: E05C1000 80833015
	v_mfma_f32_16x16x16_f16 v[88:91], a[178:179], v[146:147], v[88:91]// 0000000076AC: D3CD0058 0D6325B2
	v_mfma_f32_16x16x16_f16 v[88:91], a[180:181], v[148:149], v[88:91]// 0000000076B4: D3CD0058 0D6329B4
	v_mfma_f32_16x16x16_f16 v[88:91], a[182:183], v[150:151], v[88:91]// 0000000076BC: D3CD0058 0D632DB6
	v_mfma_f32_16x16x16_f16 v[88:91], a[184:185], v[152:153], v[88:91]// 0000000076C4: D3CD0058 0D6331B8
	buffer_load_dwordx4 a[52:55], v21, s[12:15], 0 offen offset:1024// 0000000076CC: E05C1400 80833415
	v_mfma_f32_16x16x16_f16 v[88:91], a[186:187], v[154:155], v[88:91]// 0000000076D4: D3CD0058 0D6335BA
	v_mfma_f32_16x16x16_f16 v[88:91], a[188:189], v[156:157], v[88:91]// 0000000076DC: D3CD0058 0D6339BC
	v_mfma_f32_16x16x16_f16 v[88:91], a[190:191], v[158:159], v[88:91]// 0000000076E4: D3CD0058 0D633DBE
	v_mfma_f32_16x16x16_f16 v[92:95], a[176:177], v[208:209], v[92:95]// 0000000076EC: D3CD005C 0D73A1B0
	buffer_load_dwordx4 a[56:59], v21, s[12:15], 0 offen offset:2048// 0000000076F4: E05C1800 80833815
	v_mfma_f32_16x16x16_f16 v[92:95], a[178:179], v[210:211], v[92:95]// 0000000076FC: D3CD005C 0D73A5B2
	v_mfma_f32_16x16x16_f16 v[92:95], a[180:181], v[212:213], v[92:95]// 000000007704: D3CD005C 0D73A9B4
	v_mfma_f32_16x16x16_f16 v[92:95], a[182:183], v[214:215], v[92:95]// 00000000770C: D3CD005C 0D73ADB6
	v_mfma_f32_16x16x16_f16 v[92:95], a[184:185], v[216:217], v[92:95]// 000000007714: D3CD005C 0D73B1B8
	buffer_load_dwordx4 a[60:63], v21, s[12:15], 0 offen offset:3072// 00000000771C: E05C1C00 80833C15
	v_mfma_f32_16x16x16_f16 v[92:95], a[186:187], v[218:219], v[92:95]// 000000007724: D3CD005C 0D73B5BA
	v_mfma_f32_16x16x16_f16 v[92:95], a[188:189], v[220:221], v[92:95]// 00000000772C: D3CD005C 0D73B9BC
	s_mov_b64 exec, s[22:23]                                   // 000000007734: BEFE0116
	global_atomic_pk_add_f16 v40, v13, s[8:9]                  // 000000007738: DD388000 00080D28
	s_mov_b64 exec, s[38:39]                                   // 000000007740: BEFE0126
	v_mfma_f32_16x16x16_f16 v[92:95], a[190:191], v[222:223], v[92:95]// 000000007744: D3CD005C 0D73BDBE
	s_waitcnt vmcnt(30)                                        // 00000000774C: BF8C4F7E
	v_mfma_f32_16x16x16_f16 v[80:83], a[192:193], v[160:161], v[80:83]// 000000007750: D3CD0050 0D4341C0
	buffer_load_dwordx4 a[64:67], v22, s[12:15], 0 offen       // 000000007758: E05C1000 80834016
	v_mfma_f32_16x16x16_f16 v[80:83], a[194:195], v[162:163], v[80:83]// 000000007760: D3CD0050 0D4345C2
	v_mfma_f32_16x16x16_f16 v[80:83], a[196:197], v[164:165], v[80:83]// 000000007768: D3CD0050 0D4349C4
	s_add_u32 s60, 0x100, s80                                  // 000000007770: 803C50FF 00000100
	s_cmp_lt_u32 s60, s81                                      // 000000007778: BF0A513C
	s_cselect_b32 s56, s56, 0                                  // 00000000777C: 85388038
	v_mfma_f32_16x16x16_f16 v[80:83], a[198:199], v[166:167], v[80:83]// 000000007780: D3CD0050 0D434DC6
	v_mfma_f32_16x16x16_f16 v[80:83], a[200:201], v[168:169], v[80:83]// 000000007788: D3CD0050 0D4351C8
	buffer_load_dwordx4 a[68:71], v22, s[12:15], 0 offen offset:1024// 000000007790: E05C1400 80834416
	v_mfma_f32_16x16x16_f16 v[80:83], a[202:203], v[170:171], v[80:83]// 000000007798: D3CD0050 0D4355CA
	v_mfma_f32_16x16x16_f16 v[80:83], a[204:205], v[172:173], v[80:83]// 0000000077A0: D3CD0050 0D4359CC
	s_cmp_ge_u32 s80, 0x100                                    // 0000000077A8: BF09FF50 00000100
	s_cselect_b32 s59, 0x100, s59                              // 0000000077B0: 853B3BFF 00000100
	v_mfma_f32_16x16x16_f16 v[80:83], a[206:207], v[174:175], v[80:83]// 0000000077B8: D3CD0050 0D435DCE
	v_mfma_f32_16x16x16_f16 v[84:87], a[192:193], v[224:225], v[84:87]// 0000000077C0: D3CD0054 0D53C1C0
	buffer_load_dwordx4 a[72:75], v22, s[12:15], 0 offen offset:2048// 0000000077C8: E05C1800 80834816
	v_mfma_f32_16x16x16_f16 v[84:87], a[194:195], v[226:227], v[84:87]// 0000000077D0: D3CD0054 0D53C5C2
	v_mfma_f32_16x16x16_f16 v[84:87], a[196:197], v[228:229], v[84:87]// 0000000077D8: D3CD0054 0D53C9C4
	s_add_u32 s16, s57, s16                                    // 0000000077E0: 80101039
	s_addc_u32 s17, 0, s17                                     // 0000000077E4: 82111180
	v_mfma_f32_16x16x16_f16 v[84:87], a[198:199], v[230:231], v[84:87]// 0000000077E8: D3CD0054 0D53CDC6
	v_mfma_f32_16x16x16_f16 v[84:87], a[200:201], v[232:233], v[84:87]// 0000000077F0: D3CD0054 0D53D1C8
	buffer_load_dwordx4 a[76:79], v22, s[12:15], 0 offen offset:3072// 0000000077F8: E05C1C00 80834C16
	v_mfma_f32_16x16x16_f16 v[84:87], a[202:203], v[234:235], v[84:87]// 000000007800: D3CD0054 0D53D5CA
	v_mfma_f32_16x16x16_f16 v[84:87], a[204:205], v[236:237], v[84:87]// 000000007808: D3CD0054 0D53D9CC
	s_mov_b64 exec, s[24:25]                                   // 000000007810: BEFE0118
	global_atomic_pk_add_f16 v42, v14, s[8:9]                  // 000000007814: DD388000 00080E2A
	s_mov_b64 exec, s[38:39]                                   // 00000000781C: BEFE0126
	v_mfma_f32_16x16x16_f16 v[84:87], a[206:207], v[238:239], v[84:87]// 000000007820: D3CD0054 0D53DDCE
	v_mfma_f32_16x16x16_f16 v[88:91], a[208:209], v[160:161], v[88:91]// 000000007828: D3CD0058 0D6341D0
	buffer_load_dwordx4 a[80:83], v23, s[12:15], 0 offen       // 000000007830: E05C1000 80835017
	v_mfma_f32_16x16x16_f16 v[88:91], a[210:211], v[162:163], v[88:91]// 000000007838: D3CD0058 0D6345D2
	v_mfma_f32_16x16x16_f16 v[88:91], a[212:213], v[164:165], v[88:91]// 000000007840: D3CD0058 0D6349D4
	v_mfma_f32_16x16x16_f16 v[88:91], a[214:215], v[166:167], v[88:91]// 000000007848: D3CD0058 0D634DD6
	v_mfma_f32_16x16x16_f16 v[88:91], a[216:217], v[168:169], v[88:91]// 000000007850: D3CD0058 0D6351D8
	buffer_load_dwordx4 a[84:87], v23, s[12:15], 0 offen offset:1024// 000000007858: E05C1400 80835417
	v_mfma_f32_16x16x16_f16 v[88:91], a[218:219], v[170:171], v[88:91]// 000000007860: D3CD0058 0D6355DA
	v_mfma_f32_16x16x16_f16 v[88:91], a[220:221], v[172:173], v[88:91]// 000000007868: D3CD0058 0D6359DC
	v_mfma_f32_16x16x16_f16 v[88:91], a[222:223], v[174:175], v[88:91]// 000000007870: D3CD0058 0D635DDE
	v_mfma_f32_16x16x16_f16 v[92:95], a[208:209], v[224:225], v[92:95]// 000000007878: D3CD005C 0D73C1D0
	buffer_load_dwordx4 a[88:91], v23, s[12:15], 0 offen offset:2048// 000000007880: E05C1800 80835817
	v_mfma_f32_16x16x16_f16 v[92:95], a[210:211], v[226:227], v[92:95]// 000000007888: D3CD005C 0D73C5D2
	v_mfma_f32_16x16x16_f16 v[92:95], a[212:213], v[228:229], v[92:95]// 000000007890: D3CD005C 0D73C9D4
	v_mfma_f32_16x16x16_f16 v[92:95], a[214:215], v[230:231], v[92:95]// 000000007898: D3CD005C 0D73CDD6
	v_mfma_f32_16x16x16_f16 v[92:95], a[216:217], v[232:233], v[92:95]// 0000000078A0: D3CD005C 0D73D1D8
	buffer_load_dwordx4 a[92:95], v23, s[12:15], 0 offen offset:3072// 0000000078A8: E05C1C00 80835C17
	v_mfma_f32_16x16x16_f16 v[92:95], a[218:219], v[234:235], v[92:95]// 0000000078B0: D3CD005C 0D73D5DA
	v_mfma_f32_16x16x16_f16 v[92:95], a[220:221], v[236:237], v[92:95]// 0000000078B8: D3CD005C 0D73D9DC
	s_mov_b64 exec, s[26:27]                                   // 0000000078C0: BEFE011A
	global_atomic_pk_add_f16 v44, v15, s[8:9]                  // 0000000078C4: DD388000 00080F2C
	s_mov_b64 exec, s[38:39]                                   // 0000000078CC: BEFE0126
	v_mfma_f32_16x16x16_f16 v[92:95], a[222:223], v[238:239], v[92:95]// 0000000078D0: D3CD005C 0D73DDDE
	s_waitcnt vmcnt(30)                                        // 0000000078D8: BF8C4F7E
	v_mfma_f32_16x16x16_f16 v[80:83], a[224:225], v[176:177], v[80:83]// 0000000078DC: D3CD0050 0D4361E0
	buffer_load_dwordx4 a[96:99], v24, s[12:15], 0 offen       // 0000000078E4: E05C1000 80836018
	v_mfma_f32_16x16x16_f16 v[80:83], a[226:227], v[178:179], v[80:83]// 0000000078EC: D3CD0050 0D4365E2
	v_mfma_f32_16x16x16_f16 v[80:83], a[228:229], v[180:181], v[80:83]// 0000000078F4: D3CD0050 0D4369E4
	v_mfma_f32_16x16x16_f16 v[80:83], a[230:231], v[182:183], v[80:83]// 0000000078FC: D3CD0050 0D436DE6
	v_mfma_f32_16x16x16_f16 v[80:83], a[232:233], v[184:185], v[80:83]// 000000007904: D3CD0050 0D4371E8
	buffer_load_dwordx4 a[100:103], v24, s[12:15], 0 offen offset:1024// 00000000790C: E05C1400 80836418
	v_mfma_f32_16x16x16_f16 v[80:83], a[234:235], v[186:187], v[80:83]// 000000007914: D3CD0050 0D4375EA
	v_mfma_f32_16x16x16_f16 v[80:83], a[236:237], v[188:189], v[80:83]// 00000000791C: D3CD0050 0D4379EC
	v_mfma_f32_16x16x16_f16 v[80:83], a[238:239], v[190:191], v[80:83]// 000000007924: D3CD0050 0D437DEE
	v_mfma_f32_16x16x16_f16 v[84:87], a[224:225], v[240:241], v[84:87]// 00000000792C: D3CD0054 0D53E1E0
	buffer_load_dwordx4 a[104:107], v24, s[12:15], 0 offen offset:2048// 000000007934: E05C1800 80836818
	v_mfma_f32_16x16x16_f16 v[84:87], a[226:227], v[242:243], v[84:87]// 00000000793C: D3CD0054 0D53E5E2
	v_mfma_f32_16x16x16_f16 v[84:87], a[228:229], v[244:245], v[84:87]// 000000007944: D3CD0054 0D53E9E4
	v_mfma_f32_16x16x16_f16 v[84:87], a[230:231], v[246:247], v[84:87]// 00000000794C: D3CD0054 0D53EDE6
	v_mfma_f32_16x16x16_f16 v[84:87], a[232:233], v[248:249], v[84:87]// 000000007954: D3CD0054 0D53F1E8
	buffer_load_dwordx4 a[108:111], v24, s[12:15], 0 offen offset:3072// 00000000795C: E05C1C00 80836C18
	v_mfma_f32_16x16x16_f16 v[84:87], a[234:235], v[250:251], v[84:87]// 000000007964: D3CD0054 0D53F5EA
	v_mfma_f32_16x16x16_f16 v[84:87], a[236:237], v[252:253], v[84:87]// 00000000796C: D3CD0054 0D53F9EC
	s_mov_b64 exec, s[28:29]                                   // 000000007974: BEFE011C
	global_atomic_pk_add_f16 v46, v16, s[8:9]                  // 000000007978: DD388000 0008102E
	s_mov_b64 exec, s[38:39]                                   // 000000007980: BEFE0126
	v_mfma_f32_16x16x16_f16 v[84:87], a[238:239], v[254:255], v[84:87]// 000000007984: D3CD0054 0D53FDEE
	v_mfma_f32_16x16x16_f16 v[88:91], a[240:241], v[176:177], v[88:91]// 00000000798C: D3CD0058 0D6361F0
	buffer_load_dwordx4 a[112:115], v25, s[12:15], 0 offen     // 000000007994: E05C1000 80837019
	v_mfma_f32_16x16x16_f16 v[88:91], a[242:243], v[178:179], v[88:91]// 00000000799C: D3CD0058 0D6365F2
	v_mfma_f32_16x16x16_f16 v[88:91], a[244:245], v[180:181], v[88:91]// 0000000079A4: D3CD0058 0D6369F4
	v_mfma_f32_16x16x16_f16 v[88:91], a[246:247], v[182:183], v[88:91]// 0000000079AC: D3CD0058 0D636DF6
	v_mfma_f32_16x16x16_f16 v[88:91], a[248:249], v[184:185], v[88:91]// 0000000079B4: D3CD0058 0D6371F8
	buffer_load_dwordx4 a[116:119], v25, s[12:15], 0 offen offset:1024// 0000000079BC: E05C1400 80837419
	v_mfma_f32_16x16x16_f16 v[88:91], a[250:251], v[186:187], v[88:91]// 0000000079C4: D3CD0058 0D6375FA
	v_mfma_f32_16x16x16_f16 v[88:91], a[252:253], v[188:189], v[88:91]// 0000000079CC: D3CD0058 0D6379FC
	v_mfma_f32_16x16x16_f16 v[88:91], a[254:255], v[190:191], v[88:91]// 0000000079D4: D3CD0058 0D637DFE
	v_mfma_f32_16x16x16_f16 v[92:95], a[240:241], v[240:241], v[92:95]// 0000000079DC: D3CD005C 0D73E1F0
	buffer_load_dwordx4 a[120:123], v25, s[12:15], 0 offen offset:2048// 0000000079E4: E05C1800 80837819
	v_mfma_f32_16x16x16_f16 v[92:95], a[242:243], v[242:243], v[92:95]// 0000000079EC: D3CD005C 0D73E5F2
	v_mfma_f32_16x16x16_f16 v[92:95], a[244:245], v[244:245], v[92:95]// 0000000079F4: D3CD005C 0D73E9F4
	v_mfma_f32_16x16x16_f16 v[92:95], a[246:247], v[246:247], v[92:95]// 0000000079FC: D3CD005C 0D73EDF6
	v_mfma_f32_16x16x16_f16 v[92:95], a[248:249], v[248:249], v[92:95]// 000000007A04: D3CD005C 0D73F1F8
	buffer_load_dwordx4 a[124:127], v25, s[12:15], 0 offen offset:3072// 000000007A0C: E05C1C00 80837C19
	v_mfma_f32_16x16x16_f16 v[92:95], a[250:251], v[250:251], v[92:95]// 000000007A14: D3CD005C 0D73F5FA
	v_mfma_f32_16x16x16_f16 v[92:95], a[252:253], v[252:253], v[92:95]// 000000007A1C: D3CD005C 0D73F9FC
	s_mov_b64 exec, s[30:31]                                   // 000000007A24: BEFE011E
	global_atomic_pk_add_f16 v48, v17, s[8:9]                  // 000000007A28: DD388000 00081130
	s_mov_b64 exec, s[38:39]                                   // 000000007A30: BEFE0126
	s_add_u32 s12, s56, s12                                    // 000000007A34: 800C0C38
	s_addc_u32 s13, 0, s13                                     // 000000007A38: 820D0D80
	v_mfma_f32_16x16x16_f16 v[92:95], a[254:255], v[254:255], v[92:95]// 000000007A3C: D3CD005C 0D73FDFE
	s_add_u32 s8, s59, s8                                      // 000000007A44: 8008083B
	s_addc_u32 s9, 0, s9                                       // 000000007A48: 82090980
	v_mul_f32_e32 v80, v8, v80                                 // 000000007A4C: 0AA0A108
	v_mul_f32_e32 v81, v8, v81                                 // 000000007A50: 0AA2A308
	v_mul_f32_e32 v82, v8, v82                                 // 000000007A54: 0AA4A508
	v_mul_f32_e32 v83, v8, v83                                 // 000000007A58: 0AA6A708
	v_mul_f32_e32 v84, v9, v84                                 // 000000007A5C: 0AA8A909
	v_mul_f32_e32 v85, v9, v85                                 // 000000007A60: 0AAAAB09
	v_mul_f32_e32 v86, v9, v86                                 // 000000007A64: 0AACAD09
	v_mul_f32_e32 v87, v9, v87                                 // 000000007A68: 0AAEAF09
	v_mul_f32_e32 v88, v8, v88                                 // 000000007A6C: 0AB0B108
	v_mul_f32_e32 v89, v8, v89                                 // 000000007A70: 0AB2B308
	v_mul_f32_e32 v90, v8, v90                                 // 000000007A74: 0AB4B508
	v_mul_f32_e32 v91, v8, v91                                 // 000000007A78: 0AB6B708
	v_mul_f32_e32 v92, v9, v92                                 // 000000007A7C: 0AB8B909
	v_mul_f32_e32 v93, v9, v93                                 // 000000007A80: 0ABABB09
	v_mul_f32_e32 v94, v9, v94                                 // 000000007A84: 0ABCBD09
	v_mul_f32_e32 v95, v9, v95                                 // 000000007A88: 0ABEBF09
	v_cvt_f16_f32_e32 v80, v80                                 // 000000007A8C: 7EA01550
	v_cvt_f16_f32_sdwa v80, v81 dst_sel:WORD_1 dst_unused:UNUSED_PRESERVE src0_sel:DWORD// 000000007A90: 7EA014F9 00061551
	v_cvt_f16_f32_e32 v81, v82                                 // 000000007A98: 7EA21552
	v_cvt_f16_f32_sdwa v81, v83 dst_sel:WORD_1 dst_unused:UNUSED_PRESERVE src0_sel:DWORD// 000000007A9C: 7EA214F9 00061553
	v_cvt_f16_f32_e32 v82, v84                                 // 000000007AA4: 7EA41554
	v_cvt_f16_f32_sdwa v82, v85 dst_sel:WORD_1 dst_unused:UNUSED_PRESERVE src0_sel:DWORD// 000000007AA8: 7EA414F9 00061555
	v_cvt_f16_f32_e32 v83, v86                                 // 000000007AB0: 7EA61556
	v_cvt_f16_f32_sdwa v83, v87 dst_sel:WORD_1 dst_unused:UNUSED_PRESERVE src0_sel:DWORD// 000000007AB4: 7EA614F9 00061557
	v_cvt_f16_f32_e32 v84, v88                                 // 000000007ABC: 7EA81558
	v_cvt_f16_f32_sdwa v84, v89 dst_sel:WORD_1 dst_unused:UNUSED_PRESERVE src0_sel:DWORD// 000000007AC0: 7EA814F9 00061559
	v_cvt_f16_f32_e32 v85, v90                                 // 000000007AC8: 7EAA155A
	v_cvt_f16_f32_sdwa v85, v91 dst_sel:WORD_1 dst_unused:UNUSED_PRESERVE src0_sel:DWORD// 000000007ACC: 7EAA14F9 0006155B
	v_cvt_f16_f32_e32 v86, v92                                 // 000000007AD4: 7EAC155C
	v_cvt_f16_f32_sdwa v86, v93 dst_sel:WORD_1 dst_unused:UNUSED_PRESERVE src0_sel:DWORD// 000000007AD8: 7EAC14F9 0006155D
	v_cvt_f16_f32_e32 v87, v94                                 // 000000007AE0: 7EAE155E
	v_cvt_f16_f32_sdwa v87, v95 dst_sel:WORD_1 dst_unused:UNUSED_PRESERVE src0_sel:DWORD// 000000007AE4: 7EAE14F9 0006155F
	s_addk_i32 s80, 0x80                                       // 000000007AEC: B7500080
	s_cmp_lt_i32 s80, s81                                      // 000000007AF0: BF045150
	s_cbranch_scc0 label_0ED8                                  // 000000007AF4: BF84F548
	s_branch label_1782                                        // 000000007AF8: BF82FC91

0000000000007afc <label_1BA1>:
	s_waitcnt lgkmcnt(0)                                       // 000000007AFC: BF8CC07F
	s_barrier                                                  // 000000007B00: BF8A0000
	ds_read_b32 v10, v4 offset:16640                           // 000000007B04: D86C4100 0A000004
	ds_read_b32 v11, v4 offset:16672                           // 000000007B0C: D86C4120 0B000004
	ds_read_b32 v12, v4 offset:16704                           // 000000007B14: D86C4140 0C000004
	ds_read_b32 v13, v4 offset:16736                           // 000000007B1C: D86C4160 0D000004
	ds_read_b32 v14, v4 offset:20992                           // 000000007B24: D86C5200 0E000004
	ds_read_b32 v15, v4 offset:21024                           // 000000007B2C: D86C5220 0F000004
	ds_read_b32 v16, v4 offset:21056                           // 000000007B34: D86C5240 10000004
	ds_read_b32 v17, v4 offset:21088                           // 000000007B3C: D86C5260 11000004
	s_waitcnt lgkmcnt(0)                                       // 000000007B44: BF8CC07F
	s_mov_b64 exec, s[16:17]                                   // 000000007B48: BEFE0110
	global_atomic_pk_add_f16 v34, v10, s[8:9]                  // 000000007B4C: DD388000 00080A22
	s_mov_b64 exec, s[38:39]                                   // 000000007B54: BEFE0126
	s_mov_b64 exec, s[18:19]                                   // 000000007B58: BEFE0112
	global_atomic_pk_add_f16 v36, v11, s[8:9]                  // 000000007B5C: DD388000 00080B24
	s_mov_b64 exec, s[38:39]                                   // 000000007B64: BEFE0126
	s_mov_b64 exec, s[20:21]                                   // 000000007B68: BEFE0114
	global_atomic_pk_add_f16 v38, v12, s[8:9]                  // 000000007B6C: DD388000 00080C26
	s_mov_b64 exec, s[38:39]                                   // 000000007B74: BEFE0126
	s_mov_b64 exec, s[22:23]                                   // 000000007B78: BEFE0116
	global_atomic_pk_add_f16 v40, v13, s[8:9]                  // 000000007B7C: DD388000 00080D28
	s_mov_b64 exec, s[38:39]                                   // 000000007B84: BEFE0126
	s_mov_b64 exec, s[24:25]                                   // 000000007B88: BEFE0118
	global_atomic_pk_add_f16 v42, v14, s[8:9]                  // 000000007B8C: DD388000 00080E2A
	s_mov_b64 exec, s[38:39]                                   // 000000007B94: BEFE0126
	s_mov_b64 exec, s[26:27]                                   // 000000007B98: BEFE011A
	global_atomic_pk_add_f16 v44, v15, s[8:9]                  // 000000007B9C: DD388000 00080F2C
	s_mov_b64 exec, s[38:39]                                   // 000000007BA4: BEFE0126
	s_mov_b64 exec, s[28:29]                                   // 000000007BA8: BEFE011C
	global_atomic_pk_add_f16 v46, v16, s[8:9]                  // 000000007BAC: DD388000 0008102E
	s_mov_b64 exec, s[38:39]                                   // 000000007BB4: BEFE0126
	s_mov_b64 exec, s[30:31]                                   // 000000007BB8: BEFE011E
	global_atomic_pk_add_f16 v48, v17, s[8:9]                  // 000000007BBC: DD388000 00081130
	s_mov_b64 exec, s[38:39]                                   // 000000007BC4: BEFE0126
	s_add_u32 s8, s59, s8                                      // 000000007BC8: 8008083B
	s_addc_u32 s9, 0, s9                                       // 000000007BCC: 82090980
	ds_write_b64 v3, v[80:81] offset:25344                     // 000000007BD0: D89A6300 00005003
	ds_write_b64 v3, v[82:83] offset:29696                     // 000000007BD8: D89A7400 00005203
	ds_write_b64 v3, v[84:85] offset:27520                     // 000000007BE0: D89A6B80 00005403
	ds_write_b64 v3, v[86:87] offset:31872                     // 000000007BE8: D89A7C80 00005603
	s_waitcnt lgkmcnt(0)                                       // 000000007BF0: BF8CC07F
	s_barrier                                                  // 000000007BF4: BF8A0000
	ds_read_b32 v10, v4 offset:25344                           // 000000007BF8: D86C6300 0A000004
	ds_read_b32 v11, v4 offset:25376                           // 000000007C00: D86C6320 0B000004
	ds_read_b32 v12, v4 offset:25408                           // 000000007C08: D86C6340 0C000004
	ds_read_b32 v13, v4 offset:25440                           // 000000007C10: D86C6360 0D000004
	ds_read_b32 v14, v4 offset:29696                           // 000000007C18: D86C7400 0E000004
	ds_read_b32 v15, v4 offset:29728                           // 000000007C20: D86C7420 0F000004
	ds_read_b32 v16, v4 offset:29760                           // 000000007C28: D86C7440 10000004
	ds_read_b32 v17, v4 offset:29792                           // 000000007C30: D86C7460 11000004
	s_waitcnt lgkmcnt(0)                                       // 000000007C38: BF8CC07F
	s_mov_b64 exec, s[16:17]                                   // 000000007C3C: BEFE0110
	global_atomic_pk_add_f16 v34, v10, s[8:9]                  // 000000007C40: DD388000 00080A22
	s_mov_b64 exec, s[38:39]                                   // 000000007C48: BEFE0126
	s_mov_b64 exec, s[18:19]                                   // 000000007C4C: BEFE0112
	global_atomic_pk_add_f16 v36, v11, s[8:9]                  // 000000007C50: DD388000 00080B24
	s_mov_b64 exec, s[38:39]                                   // 000000007C58: BEFE0126
	s_mov_b64 exec, s[20:21]                                   // 000000007C5C: BEFE0114
	global_atomic_pk_add_f16 v38, v12, s[8:9]                  // 000000007C60: DD388000 00080C26
	s_mov_b64 exec, s[38:39]                                   // 000000007C68: BEFE0126
	s_mov_b64 exec, s[22:23]                                   // 000000007C6C: BEFE0116
	global_atomic_pk_add_f16 v40, v13, s[8:9]                  // 000000007C70: DD388000 00080D28
	s_mov_b64 exec, s[38:39]                                   // 000000007C78: BEFE0126
	s_mov_b64 exec, s[24:25]                                   // 000000007C7C: BEFE0118
	global_atomic_pk_add_f16 v42, v14, s[8:9]                  // 000000007C80: DD388000 00080E2A
	s_mov_b64 exec, s[38:39]                                   // 000000007C88: BEFE0126
	s_mov_b64 exec, s[26:27]                                   // 000000007C8C: BEFE011A
	global_atomic_pk_add_f16 v44, v15, s[8:9]                  // 000000007C90: DD388000 00080F2C
	s_mov_b64 exec, s[38:39]                                   // 000000007C98: BEFE0126
	s_mov_b64 exec, s[28:29]                                   // 000000007C9C: BEFE011C
	global_atomic_pk_add_f16 v46, v16, s[8:9]                  // 000000007CA0: DD388000 0008102E
	s_mov_b64 exec, s[38:39]                                   // 000000007CA8: BEFE0126
	s_mov_b64 exec, s[30:31]                                   // 000000007CAC: BEFE011E
	global_atomic_pk_add_f16 v48, v17, s[8:9]                  // 000000007CB0: DD388000 00081130
	s_mov_b64 exec, s[38:39]                                   // 000000007CB8: BEFE0126

0000000000007cbc <label_1C11>:
	s_waitcnt vmcnt(0) expcnt(0) lgkmcnt(0)                    // 000000007CBC: BF8C0000
	s_endpgm                                                   // 000000007CC0: BF810000
